;; amdgpu-corpus repo=ROCm/rocFFT kind=compiled arch=gfx1100 opt=O3
	.text
	.amdgcn_target "amdgcn-amd-amdhsa--gfx1100"
	.amdhsa_code_object_version 6
	.protected	bluestein_single_back_len924_dim1_dp_op_CI_CI ; -- Begin function bluestein_single_back_len924_dim1_dp_op_CI_CI
	.globl	bluestein_single_back_len924_dim1_dp_op_CI_CI
	.p2align	8
	.type	bluestein_single_back_len924_dim1_dp_op_CI_CI,@function
bluestein_single_back_len924_dim1_dp_op_CI_CI: ; @bluestein_single_back_len924_dim1_dp_op_CI_CI
; %bb.0:
	s_load_b128 s[8:11], s[0:1], 0x28
	v_mul_u32_u24_e32 v1, 0x5d2, v0
	s_mov_b32 s2, exec_lo
	v_mov_b32_e32 v10, 0
	s_delay_alu instid0(VALU_DEP_2) | instskip(NEXT) | instid1(VALU_DEP_1)
	v_lshrrev_b32_e32 v1, 16, v1
	v_add_nc_u32_e32 v9, s15, v1
	s_waitcnt lgkmcnt(0)
	s_delay_alu instid0(VALU_DEP_1)
	v_cmpx_gt_u64_e64 s[8:9], v[9:10]
	s_cbranch_execz .LBB0_31
; %bb.1:
	s_clause 0x1
	s_load_b128 s[4:7], s[0:1], 0x18
	s_load_b64 s[2:3], s[0:1], 0x0
	v_mul_lo_u16 v1, v1, 44
	v_mov_b32_e32 v7, v9
	s_delay_alu instid0(VALU_DEP_2) | instskip(NEXT) | instid1(VALU_DEP_1)
	v_sub_nc_u16 v2, v0, v1
	v_and_b32_e32 v10, 0xffff, v2
	s_delay_alu instid0(VALU_DEP_1)
	v_lshlrev_b32_e32 v168, 4, v10
	s_waitcnt lgkmcnt(0)
	s_load_b128 s[12:15], s[4:5], 0x0
	s_clause 0x5
	global_load_b128 v[115:118], v168, s[2:3]
	global_load_b128 v[159:162], v168, s[2:3] offset:704
	global_load_b128 v[163:166], v168, s[2:3] offset:1408
	global_load_b128 v[169:172], v168, s[2:3] offset:2112
	global_load_b128 v[177:180], v168, s[2:3] offset:2816
	global_load_b128 v[173:176], v168, s[2:3] offset:3520
	v_add_co_u32 v5, s4, s2, v168
	s_delay_alu instid0(VALU_DEP_1) | instskip(NEXT) | instid1(VALU_DEP_2)
	v_add_co_ci_u32_e64 v6, null, s3, 0, s4
	v_add_co_u32 v77, vcc_lo, 0x1000, v5
	s_delay_alu instid0(VALU_DEP_2)
	v_add_co_ci_u32_e32 v78, vcc_lo, 0, v6, vcc_lo
	v_add_co_u32 v0, vcc_lo, 0x2000, v5
	v_add_co_ci_u32_e32 v1, vcc_lo, 0, v6, vcc_lo
	v_add_co_u32 v79, vcc_lo, 0x3000, v5
	s_clause 0x1
	scratch_store_b32 off, v5, off offset:348
	scratch_store_b32 off, v6, off offset:352
	s_waitcnt lgkmcnt(0)
	v_mad_u64_u32 v[3:4], null, s14, v9, 0
	v_add_co_ci_u32_e32 v80, vcc_lo, 0, v6, vcc_lo
	v_mad_u64_u32 v[5:6], null, s12, v10, 0
	s_clause 0x5
	global_load_b128 v[225:228], v[77:78], off offset:3296
	global_load_b128 v[221:224], v[77:78], off offset:4000
	;; [unrolled: 1-line block ×6, first 2 shown]
	s_clause 0x1
	scratch_store_b64 off, v[7:8], off offset:12
	scratch_store_b32 off, v10, off
	global_load_b128 v[185:188], v[0:1], off offset:3424
	s_mul_i32 s3, s13, 0x1ce
	s_mul_hi_u32 s5, s12, 0x1ce
	v_mad_u64_u32 v[7:8], null, s15, v9, v[4:5]
	s_mul_i32 s2, s12, 0x1ce
	s_add_i32 s3, s5, s3
	s_mul_hi_u32 s9, s12, 0xfffffe5e
	s_mul_i32 s8, s13, 0xfffffe5e
	s_sub_i32 s5, s9, s12
	s_mul_i32 s4, s12, 0xfffffe5e
	s_delay_alu instid0(VALU_DEP_1)
	v_mad_u64_u32 v[0:1], null, s13, v10, v[6:7]
	v_mov_b32_e32 v4, v7
	s_add_i32 s5, s5, s8
	s_clause 0x4
	global_load_b128 v[193:196], v[77:78], off offset:128
	global_load_b128 v[181:184], v[77:78], off offset:832
	;; [unrolled: 1-line block ×5, first 2 shown]
	v_mov_b32_e32 v6, v0
	v_lshlrev_b64 v[0:1], 4, v[3:4]
	s_delay_alu instid0(VALU_DEP_2) | instskip(NEXT) | instid1(VALU_DEP_2)
	v_lshlrev_b64 v[3:4], 4, v[5:6]
	v_add_co_u32 v0, vcc_lo, s10, v0
	s_delay_alu instid0(VALU_DEP_3) | instskip(SKIP_1) | instid1(VALU_DEP_2)
	v_add_co_ci_u32_e32 v1, vcc_lo, s11, v1, vcc_lo
	s_lshl_b64 s[10:11], s[2:3], 4
	v_add_co_u32 v0, vcc_lo, v0, v3
	s_delay_alu instid0(VALU_DEP_2) | instskip(SKIP_1) | instid1(VALU_DEP_2)
	v_add_co_ci_u32_e32 v1, vcc_lo, v1, v4, vcc_lo
	s_lshl_b64 s[2:3], s[4:5], 4
	v_add_co_u32 v7, vcc_lo, v0, s10
	s_delay_alu instid0(VALU_DEP_2) | instskip(NEXT) | instid1(VALU_DEP_2)
	v_add_co_ci_u32_e32 v8, vcc_lo, s11, v1, vcc_lo
	v_add_co_u32 v11, vcc_lo, v7, s2
	s_delay_alu instid0(VALU_DEP_2)
	v_add_co_ci_u32_e32 v12, vcc_lo, s3, v8, vcc_lo
	s_clause 0x1
	global_load_b128 v[3:6], v[0:1], off
	global_load_b128 v[7:10], v[7:8], off
	v_add_co_u32 v15, vcc_lo, v11, s10
	v_add_co_ci_u32_e32 v16, vcc_lo, s11, v12, vcc_lo
	s_delay_alu instid0(VALU_DEP_2) | instskip(NEXT) | instid1(VALU_DEP_2)
	v_add_co_u32 v19, vcc_lo, v15, s2
	v_add_co_ci_u32_e32 v20, vcc_lo, s3, v16, vcc_lo
	s_clause 0x1
	global_load_b128 v[11:14], v[11:12], off
	global_load_b128 v[15:18], v[15:16], off
	v_add_co_u32 v0, vcc_lo, v19, s10
	v_add_co_ci_u32_e32 v1, vcc_lo, s11, v20, vcc_lo
	scratch_store_b64 off, v[77:78], off offset:36 ; 8-byte Folded Spill
	v_add_co_u32 v27, vcc_lo, v0, s2
	v_add_co_ci_u32_e32 v28, vcc_lo, s3, v1, vcc_lo
	global_load_b128 v[23:26], v[0:1], off
	v_add_co_u32 v31, vcc_lo, v27, s10
	v_add_co_ci_u32_e32 v32, vcc_lo, s11, v28, vcc_lo
	global_load_b128 v[19:22], v[19:20], off
	;; [unrolled: 3-line block ×14, first 2 shown]
	global_load_b128 v[229:232], v[77:78], off offset:2240
	global_load_b128 v[75:78], v[75:76], off
	scratch_store_b64 off, v[79:80], off offset:4 ; 8-byte Folded Spill
	global_load_b128 v[233:236], v[79:80], off offset:1440
	global_load_b128 v[79:82], v[0:1], off
	v_cmp_gt_u16_e32 vcc_lo, 22, v2
	s_waitcnt vmcnt(39)
	scratch_store_b128 off, v[115:118], off offset:20 ; 16-byte Folded Spill
	s_waitcnt vmcnt(38)
	scratch_store_b128 off, v[159:162], off offset:44 ; 16-byte Folded Spill
	;; [unrolled: 2-line block ×16, first 2 shown]
	s_waitcnt vmcnt(22)
	s_clause 0x1
	scratch_store_b128 off, v[209:212], off offset:236
	scratch_store_b128 off, v[201:204], off offset:204
	s_waitcnt vmcnt(21)
	v_mul_f64 v[83:84], v[5:6], v[117:118]
	v_mul_f64 v[85:86], v[3:4], v[117:118]
	s_waitcnt vmcnt(20)
	v_mul_f64 v[87:88], v[9:10], v[227:228]
	v_mul_f64 v[89:90], v[7:8], v[227:228]
	;; [unrolled: 3-line block ×7, first 2 shown]
	v_fma_f64 v[3:4], v[3:4], v[115:116], v[83:84]
	v_fma_f64 v[5:6], v[5:6], v[115:116], -v[85:86]
	s_waitcnt vmcnt(14)
	v_mul_f64 v[83:84], v[37:38], v[179:180]
	s_waitcnt vmcnt(13)
	v_mul_f64 v[111:112], v[33:34], v[215:216]
	v_mul_f64 v[113:114], v[31:32], v[215:216]
	;; [unrolled: 1-line block ×3, first 2 shown]
	v_fma_f64 v[7:8], v[7:8], v[225:226], v[87:88]
	v_fma_f64 v[9:10], v[9:10], v[225:226], -v[89:90]
	s_waitcnt vmcnt(12)
	v_mul_f64 v[115:116], v[41:42], v[199:200]
	v_mul_f64 v[117:118], v[39:40], v[199:200]
	v_fma_f64 v[11:12], v[11:12], v[159:160], v[91:92]
	v_fma_f64 v[13:14], v[13:14], v[159:160], -v[93:94]
	v_fma_f64 v[15:16], v[15:16], v[221:222], v[95:96]
	s_waitcnt vmcnt(11)
	v_mul_f64 v[123:124], v[49:50], v[191:192]
	v_mul_f64 v[125:126], v[47:48], v[191:192]
	v_fma_f64 v[17:18], v[17:18], v[221:222], -v[97:98]
	s_waitcnt vmcnt(10)
	v_mul_f64 v[119:120], v[45:46], v[175:176]
	v_mul_f64 v[121:122], v[43:44], v[175:176]
	v_fma_f64 v[23:24], v[23:24], v[217:218], v[103:104]
	v_fma_f64 v[25:26], v[25:26], v[217:218], -v[105:106]
	s_waitcnt vmcnt(9)
	v_mul_f64 v[127:128], v[53:54], v[195:196]
	v_mul_f64 v[129:130], v[51:52], v[195:196]
	v_fma_f64 v[19:20], v[19:20], v[163:164], v[99:100]
	;; [unrolled: 5-line block ×3, first 2 shown]
	v_fma_f64 v[29:30], v[29:30], v[169:170], -v[109:110]
	s_waitcnt vmcnt(7)
	v_mul_f64 v[131:132], v[57:58], v[187:188]
	v_mul_f64 v[133:134], v[55:56], v[187:188]
	s_waitcnt vmcnt(6)
	v_mul_f64 v[143:144], v[69:70], v[203:204]
	v_mul_f64 v[145:146], v[67:68], v[203:204]
	v_fma_f64 v[35:36], v[35:36], v[177:178], v[83:84]
	v_fma_f64 v[31:32], v[31:32], v[213:214], v[111:112]
	v_fma_f64 v[33:34], v[33:34], v[213:214], -v[113:114]
	s_waitcnt vmcnt(5)
	v_mul_f64 v[139:140], v[65:66], v[207:208]
	v_mul_f64 v[141:142], v[63:64], v[207:208]
	v_fma_f64 v[37:38], v[37:38], v[177:178], -v[85:86]
	v_fma_f64 v[39:40], v[39:40], v[197:198], v[115:116]
	v_fma_f64 v[41:42], v[41:42], v[197:198], -v[117:118]
	s_waitcnt vmcnt(4)
	v_mul_f64 v[147:148], v[73:74], v[211:212]
	s_waitcnt vmcnt(2)
	v_mul_f64 v[151:152], v[77:78], v[231:232]
	v_mul_f64 v[153:154], v[75:76], v[231:232]
	;; [unrolled: 1-line block ×3, first 2 shown]
	s_waitcnt vmcnt(0)
	v_mul_f64 v[155:156], v[81:82], v[235:236]
	v_mul_f64 v[157:158], v[79:80], v[235:236]
	v_fma_f64 v[47:48], v[47:48], v[189:190], v[123:124]
	v_fma_f64 v[49:50], v[49:50], v[189:190], -v[125:126]
	v_fma_f64 v[43:44], v[43:44], v[173:174], v[119:120]
	v_fma_f64 v[45:46], v[45:46], v[173:174], -v[121:122]
	s_clause 0x1
	scratch_store_b128 off, v[229:232], off offset:316
	scratch_store_b128 off, v[233:236], off offset:332
	s_load_b64 s[8:9], s[0:1], 0x38
	s_load_b128 s[4:7], s[6:7], 0x0
	v_fma_f64 v[51:52], v[51:52], v[193:194], v[127:128]
	v_fma_f64 v[53:54], v[53:54], v[193:194], -v[129:130]
	v_fma_f64 v[59:60], v[59:60], v[181:182], v[135:136]
	v_fma_f64 v[61:62], v[61:62], v[181:182], -v[137:138]
	;; [unrolled: 2-line block ×5, first 2 shown]
	ds_store_b128 v168, v[3:6]
	ds_store_b128 v168, v[11:14] offset:704
	ds_store_b128 v168, v[7:10] offset:7392
	;; [unrolled: 1-line block ×15, first 2 shown]
	v_fma_f64 v[75:76], v[75:76], v[229:230], v[151:152]
	v_fma_f64 v[77:78], v[77:78], v[229:230], -v[153:154]
	v_fma_f64 v[71:72], v[71:72], v[209:210], v[147:148]
	v_fma_f64 v[73:74], v[73:74], v[209:210], -v[149:150]
	;; [unrolled: 2-line block ×3, first 2 shown]
	ds_store_b128 v168, v[67:70] offset:5632
	ds_store_b128 v168, v[75:78] offset:6336
	ds_store_b128 v168, v[71:74] offset:13024
	ds_store_b128 v168, v[79:82] offset:13728
	s_and_saveexec_b32 s12, vcc_lo
	s_cbranch_execz .LBB0_3
; %bb.2:
	v_add_co_u32 v0, s2, v0, s2
	s_delay_alu instid0(VALU_DEP_1) | instskip(NEXT) | instid1(VALU_DEP_2)
	v_add_co_ci_u32_e64 v1, s2, s3, v1, s2
	v_add_co_u32 v12, s2, v0, s10
	s_delay_alu instid0(VALU_DEP_1)
	v_add_co_ci_u32_e64 v13, s2, s11, v1, s2
	global_load_b128 v[0:3], v[0:1], off
	scratch_load_b64 v[4:5], off, off offset:36 ; 8-byte Folded Reload
	s_waitcnt vmcnt(0)
	global_load_b128 v[4:7], v[4:5], off offset:2944
	scratch_load_b64 v[8:9], off, off offset:4 ; 8-byte Folded Reload
	s_waitcnt vmcnt(0)
	global_load_b128 v[8:11], v[8:9], off offset:2144
	global_load_b128 v[12:15], v[12:13], off
	v_mul_f64 v[16:17], v[2:3], v[6:7]
	v_mul_f64 v[6:7], v[0:1], v[6:7]
	s_delay_alu instid0(VALU_DEP_2) | instskip(NEXT) | instid1(VALU_DEP_2)
	v_fma_f64 v[0:1], v[0:1], v[4:5], v[16:17]
	v_fma_f64 v[2:3], v[2:3], v[4:5], -v[6:7]
	s_waitcnt vmcnt(0)
	v_mul_f64 v[18:19], v[14:15], v[10:11]
	v_mul_f64 v[10:11], v[12:13], v[10:11]
	s_delay_alu instid0(VALU_DEP_2) | instskip(NEXT) | instid1(VALU_DEP_2)
	v_fma_f64 v[4:5], v[12:13], v[8:9], v[18:19]
	v_fma_f64 v[6:7], v[14:15], v[8:9], -v[10:11]
	ds_store_b128 v168, v[0:3] offset:7040
	ds_store_b128 v168, v[4:7] offset:14432
.LBB0_3:
	s_or_b32 exec_lo, exec_lo, s12
	s_waitcnt lgkmcnt(0)
	s_waitcnt_vscnt null, 0x0
	s_barrier
	buffer_gl0_inv
	ds_load_b128 v[28:31], v168
	ds_load_b128 v[32:35], v168 offset:704
	ds_load_b128 v[88:91], v168 offset:7392
	;; [unrolled: 1-line block ×19, first 2 shown]
                                        ; implicit-def: $vgpr12_vgpr13
                                        ; implicit-def: $vgpr48_vgpr49
	s_and_saveexec_b32 s2, vcc_lo
	s_cbranch_execz .LBB0_5
; %bb.4:
	ds_load_b128 v[12:15], v168 offset:7040
	ds_load_b128 v[48:51], v168 offset:14432
.LBB0_5:
	s_or_b32 exec_lo, exec_lo, s2
	s_waitcnt lgkmcnt(17)
	v_add_f64 v[76:77], v[28:29], -v[88:89]
	s_waitcnt lgkmcnt(8)
	v_add_f64 v[88:89], v[24:25], -v[64:65]
	scratch_load_b32 v65, off, off          ; 4-byte Folded Reload
	v_add_f64 v[78:79], v[30:31], -v[90:91]
	v_add_f64 v[84:85], v[32:33], -v[84:85]
	;; [unrolled: 1-line block ×10, first 2 shown]
	s_waitcnt lgkmcnt(5)
	v_add_f64 v[92:93], v[20:21], -v[60:61]
	v_add_f64 v[94:95], v[22:23], -v[62:63]
	s_waitcnt lgkmcnt(4)
	v_add_f64 v[96:97], v[16:17], -v[56:57]
	v_add_f64 v[98:99], v[18:19], -v[58:59]
	;; [unrolled: 3-line block ×4, first 2 shown]
	v_add_f64 v[4:5], v[12:13], -v[48:49]
	v_add_f64 v[6:7], v[14:15], -v[50:51]
	s_load_b64 s[2:3], s[0:1], 0x8
	s_waitcnt vmcnt(0) lgkmcnt(0)
	s_barrier
	buffer_gl0_inv
	v_fma_f64 v[28:29], v[28:29], 2.0, -v[76:77]
	v_fma_f64 v[24:25], v[24:25], 2.0, -v[88:89]
	;; [unrolled: 1-line block ×22, first 2 shown]
	v_add_co_u32 v169, s0, v65, 44
	s_delay_alu instid0(VALU_DEP_1) | instskip(SKIP_1) | instid1(VALU_DEP_1)
	v_add_co_ci_u32_e64 v64, null, 0, 0, s0
	v_add_co_u32 v60, s0, 0x58, v65
	v_add_co_ci_u32_e64 v61, null, 0, 0, s0
	v_add_co_u32 v56, null, 0x84, v65
	v_add_co_u32 v57, null, 0xb0, v65
	;; [unrolled: 1-line block ×4, first 2 shown]
	v_lshlrev_b32_e32 v61, 1, v65
	v_add_co_u32 v62, null, 0x1b8, v65
	v_lshlrev_b32_e32 v65, 5, v65
	v_lshlrev_b32_e32 v66, 5, v169
	;; [unrolled: 1-line block ×4, first 2 shown]
	v_add_nc_u32_e32 v67, 0x268, v61
	ds_store_b128 v65, v[28:31]
	scratch_store_b32 off, v65, off offset:444 ; 4-byte Folded Spill
	ds_store_b128 v65, v[76:79] offset:16
	ds_store_b128 v66, v[32:35]
	scratch_store_b32 off, v66, off offset:448 ; 4-byte Folded Spill
	ds_store_b128 v66, v[84:87] offset:16
	;; [unrolled: 3-line block ×3, first 2 shown]
	v_lshlrev_b32_e32 v13, 5, v57
	ds_store_b128 v12, v[36:39]
	ds_store_b128 v12, v[80:83] offset:16
	scratch_store_b32 off, v12, off offset:428 ; 4-byte Folded Spill
	v_lshlrev_b32_e32 v12, 5, v58
	scratch_store_b32 off, v13, off offset:432 ; 4-byte Folded Spill
	ds_store_b128 v13, v[40:43]
	ds_store_b128 v13, v[68:71] offset:16
	v_lshlrev_b32_e32 v14, 5, v59
	v_lshlrev_b32_e32 v13, 4, v67
	v_add_nc_u32_e32 v70, 0x2c0, v61
	v_add_nc_u32_e32 v71, 0x318, v61
	v_lshlrev_b32_e32 v63, 1, v169
	v_lshlrev_b32_e32 v64, 1, v60
	;; [unrolled: 1-line block ×5, first 2 shown]
	ds_store_b128 v12, v[24:27]
	ds_store_b128 v12, v[88:91] offset:16
	s_clause 0x1
	scratch_store_b32 off, v12, off offset:436
	scratch_store_b32 off, v13, off offset:440
	v_lshlrev_b32_e32 v69, 1, v59
	v_lshlrev_b32_e32 v12, 4, v61
	ds_store_b128 v14, v[20:23]
	ds_store_b128 v14, v[92:95] offset:16
	v_lshlrev_b32_e32 v15, 4, v70
	scratch_store_b32 off, v14, off offset:456 ; 4-byte Folded Spill
	ds_store_b128 v13, v[96:99] offset:16
	v_lshlrev_b32_e32 v14, 4, v71
	v_lshlrev_b32_e32 v13, 5, v62
	scratch_store_b32 off, v15, off offset:464 ; 4-byte Folded Spill
	ds_store_b128 v12, v[16:19] offset:9856
	ds_store_b128 v12, v[48:51] offset:11264
	scratch_store_b32 off, v13, off offset:768 ; 4-byte Folded Spill
	ds_store_b128 v15, v[52:55] offset:16
	ds_store_b128 v12, v[8:11] offset:12672
	scratch_store_b32 off, v14, off offset:460 ; 4-byte Folded Spill
	ds_store_b128 v14, v[100:103] offset:16
	s_and_saveexec_b32 s0, vcc_lo
	s_cbranch_execz .LBB0_7
; %bb.6:
	v_lshlrev_b32_e32 v8, 5, v62
	ds_store_b128 v8, v[0:3]
	ds_store_b128 v8, v[4:7] offset:16
.LBB0_7:
	s_or_b32 exec_lo, exec_lo, s0
	s_waitcnt lgkmcnt(0)
	s_waitcnt_vscnt null, 0x0
	s_barrier
	buffer_gl0_inv
	ds_load_b128 v[8:11], v168
	ds_load_b128 v[12:15], v168 offset:704
	ds_load_b128 v[20:23], v168 offset:7392
	ds_load_b128 v[16:19], v168 offset:8096
	ds_load_b128 v[80:83], v168 offset:1408
	ds_load_b128 v[84:87], v168 offset:2112
	ds_load_b128 v[28:31], v168 offset:8800
	ds_load_b128 v[24:27], v168 offset:9504
	ds_load_b128 v[88:91], v168 offset:2816
	ds_load_b128 v[92:95], v168 offset:3520
	ds_load_b128 v[36:39], v168 offset:10208
	ds_load_b128 v[32:35], v168 offset:10912
	ds_load_b128 v[96:99], v168 offset:4224
	ds_load_b128 v[100:103], v168 offset:4928
	ds_load_b128 v[44:47], v168 offset:11616
	ds_load_b128 v[40:43], v168 offset:12320
	ds_load_b128 v[108:111], v168 offset:5632
	ds_load_b128 v[112:115], v168 offset:6336
	ds_load_b128 v[52:55], v168 offset:13024
	ds_load_b128 v[48:51], v168 offset:13728
	s_and_saveexec_b32 s0, vcc_lo
	s_cbranch_execz .LBB0_9
; %bb.8:
	ds_load_b128 v[0:3], v168 offset:7040
	ds_load_b128 v[4:7], v168 offset:14432
.LBB0_9:
	s_or_b32 exec_lo, exec_lo, s0
	scratch_load_b32 v72, off, off          ; 4-byte Folded Reload
	s_waitcnt vmcnt(0)
	v_and_b32_e32 v148, 1, v72
	s_delay_alu instid0(VALU_DEP_1)
	v_lshlrev_b32_e32 v72, 4, v148
	v_and_or_b32 v65, 0x1fc, v65, v148
	v_and_or_b32 v66, 0x1fc, v66, v148
	;; [unrolled: 1-line block ×4, first 2 shown]
	global_load_b128 v[104:107], v72, s[2:3]
	v_and_or_b32 v67, 0x2fc, v67, v148
	v_and_or_b32 v70, 0x3fc, v70, v148
	;; [unrolled: 1-line block ×3, first 2 shown]
	scratch_store_b32 off, v148, off offset:356 ; 4-byte Folded Spill
	v_lshlrev_b32_e32 v67, 4, v67
	s_waitcnt vmcnt(0) lgkmcnt(17)
	v_mul_f64 v[72:73], v[22:23], v[106:107]
	v_mul_f64 v[74:75], v[20:21], v[106:107]
	s_waitcnt lgkmcnt(13)
	v_mul_f64 v[116:117], v[30:31], v[106:107]
	v_mul_f64 v[118:119], v[28:29], v[106:107]
	s_waitcnt lgkmcnt(9)
	;; [unrolled: 3-line block ×3, first 2 shown]
	v_mul_f64 v[128:129], v[34:35], v[106:107]
	v_mul_f64 v[130:131], v[32:33], v[106:107]
	v_mul_f64 v[76:77], v[18:19], v[106:107]
	v_mul_f64 v[78:79], v[16:17], v[106:107]
	v_mul_f64 v[120:121], v[26:27], v[106:107]
	v_mul_f64 v[122:123], v[24:25], v[106:107]
	s_waitcnt lgkmcnt(5)
	v_mul_f64 v[132:133], v[46:47], v[106:107]
	v_mul_f64 v[134:135], v[44:45], v[106:107]
	s_waitcnt lgkmcnt(4)
	v_mul_f64 v[136:137], v[42:43], v[106:107]
	v_mul_f64 v[138:139], v[40:41], v[106:107]
	;; [unrolled: 3-line block ×4, first 2 shown]
	v_fma_f64 v[20:21], v[20:21], v[104:105], -v[72:73]
	v_fma_f64 v[22:23], v[22:23], v[104:105], v[74:75]
	v_fma_f64 v[28:29], v[28:29], v[104:105], -v[116:117]
	v_fma_f64 v[30:31], v[30:31], v[104:105], v[118:119]
	;; [unrolled: 2-line block ×4, first 2 shown]
	v_mul_f64 v[128:129], v[6:7], v[106:107]
	v_mul_f64 v[130:131], v[4:5], v[106:107]
	v_fma_f64 v[72:73], v[16:17], v[104:105], -v[76:77]
	v_fma_f64 v[74:75], v[18:19], v[104:105], v[78:79]
	v_fma_f64 v[76:77], v[24:25], v[104:105], -v[120:121]
	v_fma_f64 v[78:79], v[26:27], v[104:105], v[122:123]
	v_fma_f64 v[44:45], v[44:45], v[104:105], -v[132:133]
	v_fma_f64 v[46:47], v[46:47], v[104:105], v[134:135]
	v_fma_f64 v[120:121], v[40:41], v[104:105], -v[136:137]
	v_fma_f64 v[122:123], v[42:43], v[104:105], v[138:139]
	v_fma_f64 v[52:53], v[52:53], v[104:105], -v[140:141]
	v_fma_f64 v[54:55], v[54:55], v[104:105], v[142:143]
	v_fma_f64 v[124:125], v[48:49], v[104:105], -v[144:145]
	v_fma_f64 v[126:127], v[50:51], v[104:105], v[146:147]
	v_add_f64 v[16:17], v[8:9], -v[20:21]
	v_add_f64 v[18:19], v[10:11], -v[22:23]
	;; [unrolled: 1-line block ×8, first 2 shown]
	v_fma_f64 v[116:117], v[4:5], v[104:105], -v[128:129]
	v_fma_f64 v[118:119], v[6:7], v[104:105], v[130:131]
	v_add_f64 v[20:21], v[12:13], -v[72:73]
	v_add_f64 v[22:23], v[14:15], -v[74:75]
	;; [unrolled: 1-line block ×12, first 2 shown]
	v_lshlrev_b32_e32 v4, 1, v62
	v_and_or_b32 v120, 0x7c, v61, v148
	v_and_or_b32 v121, 0xfc, v63, v148
	;; [unrolled: 1-line block ×3, first 2 shown]
	scratch_store_b32 off, v4, off offset:424 ; 4-byte Folded Spill
	s_waitcnt_vscnt null, 0x0
	s_barrier
	buffer_gl0_inv
	v_fma_f64 v[4:5], v[8:9], 2.0, -v[16:17]
	v_fma_f64 v[6:7], v[10:11], 2.0, -v[18:19]
	;; [unrolled: 1-line block ×6, first 2 shown]
	v_add_f64 v[244:245], v[0:1], -v[116:117]
	v_add_f64 v[246:247], v[2:3], -v[118:119]
	v_fma_f64 v[8:9], v[12:13], 2.0, -v[20:21]
	v_fma_f64 v[10:11], v[14:15], 2.0, -v[22:23]
	;; [unrolled: 1-line block ×14, first 2 shown]
	v_lshlrev_b32_e32 v101, 4, v120
	v_lshlrev_b32_e32 v100, 4, v121
	;; [unrolled: 1-line block ×9, first 2 shown]
	scratch_store_b32 off, v101, off offset:504 ; 4-byte Folded Spill
	ds_store_b128 v101, v[4:7]
	ds_store_b128 v101, v[16:19] offset:32
	ds_store_b128 v100, v[8:11]
	scratch_store_b32 off, v100, off offset:500 ; 4-byte Folded Spill
	ds_store_b128 v100, v[20:23] offset:32
	ds_store_b128 v99, v[12:15]
	scratch_store_b32 off, v99, off offset:496 ; 4-byte Folded Spill
	;; [unrolled: 3-line block ×9, first 2 shown]
	ds_store_b128 v65, v[52:55] offset:32
	s_and_saveexec_b32 s0, vcc_lo
	s_cbranch_execz .LBB0_11
; %bb.10:
	s_clause 0x1
	scratch_load_b32 v4, off, off offset:356
	scratch_load_b32 v5, off, off offset:424
	v_fma_f64 v[2:3], v[2:3], 2.0, -v[246:247]
	v_fma_f64 v[0:1], v[0:1], 2.0, -v[244:245]
	s_waitcnt vmcnt(0)
	v_and_or_b32 v4, 0x3fc, v5, v4
	s_delay_alu instid0(VALU_DEP_1)
	v_lshlrev_b32_e32 v4, 4, v4
	ds_store_b128 v4, v[0:3]
	ds_store_b128 v4, v[244:247] offset:32
.LBB0_11:
	s_or_b32 exec_lo, exec_lo, s0
	scratch_load_b32 v210, off, off         ; 4-byte Folded Reload
	s_waitcnt vmcnt(0) lgkmcnt(0)
	s_waitcnt_vscnt null, 0x0
	s_barrier
	buffer_gl0_inv
	s_mov_b32 s0, 0xe8584caa
	s_mov_b32 s1, 0x3febb67a
	;; [unrolled: 1-line block ×20, first 2 shown]
	v_and_b32_e32 v4, 3, v210
	s_delay_alu instid0(VALU_DEP_1)
	v_lshlrev_b32_e32 v0, 5, v4
	s_clause 0x1
	global_load_b128 v[84:87], v0, s[2:3] offset:32
	global_load_b128 v[80:83], v0, s[2:3] offset:48
	ds_load_b128 v[88:91], v168 offset:4928
	ds_load_b128 v[92:95], v168 offset:9856
	ds_load_b128 v[0:3], v168 offset:5632
	ds_load_b128 v[5:8], v168 offset:4224
	ds_load_b128 v[9:12], v168 offset:10560
	ds_load_b128 v[13:16], v168 offset:6336
	ds_load_b128 v[17:20], v168 offset:11264
	s_waitcnt vmcnt(1) lgkmcnt(4)
	v_mul_f64 v[29:30], v[2:3], v[86:87]
	v_mul_f64 v[31:32], v[0:1], v[86:87]
	s_waitcnt vmcnt(0)
	v_mul_f64 v[25:26], v[94:95], v[82:83]
	v_mul_f64 v[27:28], v[92:93], v[82:83]
	;; [unrolled: 1-line block ×4, first 2 shown]
	v_fma_f64 v[29:30], v[0:1], v[84:85], -v[29:30]
	v_fma_f64 v[31:32], v[2:3], v[84:85], v[31:32]
	ds_load_b128 v[0:3], v168 offset:7744
	s_waitcnt lgkmcnt(3)
	v_mul_f64 v[33:34], v[11:12], v[82:83]
	v_mul_f64 v[35:36], v[9:10], v[82:83]
	v_fma_f64 v[45:46], v[92:93], v[80:81], -v[25:26]
	v_fma_f64 v[47:48], v[94:95], v[80:81], v[27:28]
	ds_load_b128 v[25:28], v168 offset:7040
	s_waitcnt lgkmcnt(3)
	v_mul_f64 v[37:38], v[15:16], v[86:87]
	v_fma_f64 v[41:42], v[88:89], v[84:85], -v[21:22]
	v_fma_f64 v[43:44], v[90:91], v[84:85], v[23:24]
	ds_load_b128 v[21:24], v168 offset:11968
	s_waitcnt lgkmcnt(3)
	v_mul_f64 v[49:50], v[19:20], v[82:83]
	v_mul_f64 v[51:52], v[17:18], v[82:83]
	;; [unrolled: 1-line block ×3, first 2 shown]
	v_fma_f64 v[33:34], v[9:10], v[80:81], -v[33:34]
	v_fma_f64 v[35:36], v[11:12], v[80:81], v[35:36]
	s_waitcnt lgkmcnt(1)
	v_mul_f64 v[9:10], v[27:28], v[86:87]
	v_mul_f64 v[11:12], v[25:26], v[86:87]
	v_fma_f64 v[37:38], v[13:14], v[84:85], -v[37:38]
	s_waitcnt lgkmcnt(0)
	v_mul_f64 v[13:14], v[23:24], v[82:83]
	v_fma_f64 v[49:50], v[17:18], v[80:81], -v[49:50]
	v_fma_f64 v[51:52], v[19:20], v[80:81], v[51:52]
	v_mul_f64 v[17:18], v[2:3], v[86:87]
	v_mul_f64 v[19:20], v[0:1], v[86:87]
	v_fma_f64 v[39:40], v[15:16], v[84:85], v[39:40]
	v_mul_f64 v[15:16], v[21:22], v[82:83]
	v_fma_f64 v[53:54], v[25:26], v[84:85], -v[9:10]
	v_fma_f64 v[61:62], v[27:28], v[84:85], v[11:12]
	ds_load_b128 v[9:12], v168 offset:12672
	v_add_f64 v[25:26], v[31:32], -v[35:36]
	v_fma_f64 v[63:64], v[21:22], v[80:81], -v[13:14]
	v_add_f64 v[21:22], v[41:42], -v[45:46]
	v_fma_f64 v[69:70], v[0:1], v[84:85], -v[17:18]
	v_fma_f64 v[71:72], v[2:3], v[84:85], v[19:20]
	ds_load_b128 v[0:3], v168 offset:13376
	v_fma_f64 v[65:66], v[23:24], v[80:81], v[15:16]
	s_waitcnt lgkmcnt(1)
	v_mul_f64 v[13:14], v[11:12], v[82:83]
	s_delay_alu instid0(VALU_DEP_1) | instskip(SKIP_1) | instid1(VALU_DEP_1)
	v_fma_f64 v[73:74], v[9:10], v[80:81], -v[13:14]
	v_mul_f64 v[9:10], v[9:10], v[82:83]
	v_fma_f64 v[75:76], v[11:12], v[80:81], v[9:10]
	ds_load_b128 v[9:12], v168 offset:8448
	ds_load_b128 v[13:16], v168 offset:9152
	s_waitcnt lgkmcnt(1)
	v_mul_f64 v[17:18], v[11:12], v[86:87]
	v_add_f64 v[94:95], v[71:72], v[75:76]
	s_delay_alu instid0(VALU_DEP_2) | instskip(SKIP_2) | instid1(VALU_DEP_2)
	v_fma_f64 v[77:78], v[9:10], v[84:85], -v[17:18]
	v_mul_f64 v[9:10], v[9:10], v[86:87]
	v_add_f64 v[17:18], v[43:44], -v[47:48]
	v_fma_f64 v[88:89], v[11:12], v[84:85], v[9:10]
	v_mul_f64 v[9:10], v[2:3], v[82:83]
	s_delay_alu instid0(VALU_DEP_1) | instskip(SKIP_1) | instid1(VALU_DEP_1)
	v_fma_f64 v[90:91], v[0:1], v[80:81], -v[9:10]
	v_mul_f64 v[0:1], v[0:1], v[82:83]
	v_fma_f64 v[92:93], v[2:3], v[80:81], v[0:1]
	s_waitcnt lgkmcnt(0)
	v_mul_f64 v[0:1], v[15:16], v[86:87]
	s_delay_alu instid0(VALU_DEP_2) | instskip(NEXT) | instid1(VALU_DEP_2)
	v_add_f64 v[108:109], v[88:89], -v[92:93]
	v_fma_f64 v[96:97], v[13:14], v[84:85], -v[0:1]
	v_mul_f64 v[0:1], v[13:14], v[86:87]
	v_add_f64 v[13:14], v[41:42], v[45:46]
	s_delay_alu instid0(VALU_DEP_2) | instskip(SKIP_3) | instid1(VALU_DEP_1)
	v_fma_f64 v[98:99], v[15:16], v[84:85], v[0:1]
	ds_load_b128 v[0:3], v168 offset:14080
	s_waitcnt lgkmcnt(0)
	v_mul_f64 v[9:10], v[2:3], v[82:83]
	v_fma_f64 v[100:101], v[0:1], v[80:81], -v[9:10]
	v_mul_f64 v[0:1], v[0:1], v[82:83]
	s_delay_alu instid0(VALU_DEP_1)
	v_fma_f64 v[102:103], v[2:3], v[80:81], v[0:1]
	ds_load_b128 v[0:3], v168
	ds_load_b128 v[9:12], v168 offset:704
	s_waitcnt lgkmcnt(1)
	v_fma_f64 v[15:16], v[13:14], -0.5, v[0:1]
	v_add_f64 v[13:14], v[43:44], v[47:48]
	v_add_f64 v[0:1], v[0:1], v[41:42]
	;; [unrolled: 1-line block ×3, first 2 shown]
	s_delay_alu instid0(VALU_DEP_3)
	v_fma_f64 v[19:20], v[13:14], -0.5, v[2:3]
	v_fma_f64 v[13:14], v[17:18], s[0:1], v[15:16]
	v_fma_f64 v[17:18], v[17:18], s[10:11], v[15:16]
	v_add_f64 v[2:3], v[2:3], v[43:44]
	v_add_f64 v[43:44], v[39:40], v[51:52]
	;; [unrolled: 1-line block ×3, first 2 shown]
	v_add_f64 v[45:46], v[37:38], -v[49:50]
	v_fma_f64 v[15:16], v[21:22], s[10:11], v[19:20]
	v_fma_f64 v[19:20], v[21:22], s[0:1], v[19:20]
	v_add_f64 v[21:22], v[29:30], v[33:34]
	v_add_f64 v[2:3], v[2:3], v[47:48]
	s_waitcnt lgkmcnt(0)
	s_delay_alu instid0(VALU_DEP_2) | instskip(SKIP_3) | instid1(VALU_DEP_3)
	v_fma_f64 v[23:24], v[21:22], -0.5, v[9:10]
	v_add_f64 v[21:22], v[31:32], v[35:36]
	v_add_f64 v[9:10], v[9:10], v[29:30]
	v_add_f64 v[29:30], v[29:30], -v[33:34]
	v_fma_f64 v[27:28], v[21:22], -0.5, v[11:12]
	v_add_f64 v[11:12], v[11:12], v[31:32]
	s_delay_alu instid0(VALU_DEP_4)
	v_add_f64 v[9:10], v[9:10], v[33:34]
	v_fma_f64 v[21:22], v[25:26], s[0:1], v[23:24]
	v_fma_f64 v[25:26], v[25:26], s[10:11], v[23:24]
	;; [unrolled: 1-line block ×3, first 2 shown]
	v_add_f64 v[11:12], v[11:12], v[35:36]
	v_fma_f64 v[27:28], v[29:30], s[0:1], v[27:28]
	ds_load_b128 v[29:32], v168 offset:1408
	ds_load_b128 v[33:36], v168 offset:2112
	s_waitcnt lgkmcnt(1)
	v_fma_f64 v[41:42], v[41:42], -0.5, v[29:30]
	v_fma_f64 v[43:44], v[43:44], -0.5, v[31:32]
	v_add_f64 v[31:32], v[31:32], v[39:40]
	v_add_f64 v[39:40], v[39:40], -v[51:52]
	v_add_f64 v[29:30], v[29:30], v[37:38]
	s_delay_alu instid0(VALU_DEP_3) | instskip(NEXT) | instid1(VALU_DEP_3)
	v_add_f64 v[31:32], v[31:32], v[51:52]
	v_fma_f64 v[37:38], v[39:40], s[0:1], v[41:42]
	v_fma_f64 v[41:42], v[39:40], s[10:11], v[41:42]
	;; [unrolled: 1-line block ×4, first 2 shown]
	v_add_f64 v[45:46], v[53:54], v[63:64]
	v_add_f64 v[29:30], v[29:30], v[49:50]
	v_add_f64 v[49:50], v[61:62], -v[65:66]
	s_waitcnt lgkmcnt(0)
	s_delay_alu instid0(VALU_DEP_3) | instskip(SKIP_3) | instid1(VALU_DEP_3)
	v_fma_f64 v[47:48], v[45:46], -0.5, v[33:34]
	v_add_f64 v[45:46], v[61:62], v[65:66]
	v_add_f64 v[33:34], v[33:34], v[53:54]
	v_add_f64 v[53:54], v[53:54], -v[63:64]
	v_fma_f64 v[51:52], v[45:46], -0.5, v[35:36]
	v_add_f64 v[35:36], v[35:36], v[61:62]
	s_delay_alu instid0(VALU_DEP_4)
	v_add_f64 v[33:34], v[33:34], v[63:64]
	v_fma_f64 v[45:46], v[49:50], s[0:1], v[47:48]
	v_fma_f64 v[49:50], v[49:50], s[10:11], v[47:48]
	;; [unrolled: 1-line block ×3, first 2 shown]
	v_add_f64 v[35:36], v[35:36], v[65:66]
	ds_load_b128 v[61:64], v168 offset:2816
	ds_load_b128 v[65:68], v168 offset:3520
	v_fma_f64 v[51:52], v[53:54], s[0:1], v[51:52]
	v_add_f64 v[53:54], v[69:70], v[73:74]
	s_waitcnt lgkmcnt(0)
	s_barrier
	buffer_gl0_inv
	v_fma_f64 v[94:95], v[94:95], -0.5, v[63:64]
	v_add_f64 v[63:64], v[63:64], v[71:72]
	v_add_f64 v[71:72], v[71:72], -v[75:76]
	v_fma_f64 v[53:54], v[53:54], -0.5, v[61:62]
	v_add_f64 v[61:62], v[61:62], v[69:70]
	s_delay_alu instid0(VALU_DEP_4) | instskip(SKIP_1) | instid1(VALU_DEP_4)
	v_add_f64 v[63:64], v[63:64], v[75:76]
	v_add_f64 v[75:76], v[69:70], -v[73:74]
	v_fma_f64 v[69:70], v[71:72], s[0:1], v[53:54]
	s_delay_alu instid0(VALU_DEP_4)
	v_add_f64 v[61:62], v[61:62], v[73:74]
	v_fma_f64 v[73:74], v[71:72], s[10:11], v[53:54]
	v_add_f64 v[53:54], v[77:78], v[90:91]
	v_fma_f64 v[71:72], v[75:76], s[10:11], v[94:95]
	v_fma_f64 v[75:76], v[75:76], s[0:1], v[94:95]
	v_add_f64 v[94:95], v[88:89], v[92:93]
	s_delay_alu instid0(VALU_DEP_4) | instskip(SKIP_2) | instid1(VALU_DEP_4)
	v_fma_f64 v[53:54], v[53:54], -0.5, v[65:66]
	v_add_f64 v[65:66], v[65:66], v[77:78]
	v_add_f64 v[77:78], v[77:78], -v[90:91]
	v_fma_f64 v[94:95], v[94:95], -0.5, v[67:68]
	v_add_f64 v[67:68], v[67:68], v[88:89]
	v_fma_f64 v[88:89], v[108:109], s[0:1], v[53:54]
	v_add_f64 v[65:66], v[65:66], v[90:91]
	s_delay_alu instid0(VALU_DEP_4) | instskip(NEXT) | instid1(VALU_DEP_4)
	v_fma_f64 v[90:91], v[77:78], s[10:11], v[94:95]
	v_add_f64 v[67:68], v[67:68], v[92:93]
	v_fma_f64 v[92:93], v[108:109], s[10:11], v[53:54]
	v_fma_f64 v[94:95], v[77:78], s[0:1], v[94:95]
	v_add_f64 v[53:54], v[96:97], v[100:101]
	v_add_f64 v[77:78], v[98:99], v[102:103]
	s_delay_alu instid0(VALU_DEP_2) | instskip(NEXT) | instid1(VALU_DEP_2)
	v_fma_f64 v[53:54], v[53:54], -0.5, v[5:6]
	v_fma_f64 v[77:78], v[77:78], -0.5, v[7:8]
	v_add_f64 v[7:8], v[7:8], v[98:99]
	v_add_f64 v[5:6], v[5:6], v[96:97]
	v_add_f64 v[98:99], v[98:99], -v[102:103]
	s_delay_alu instid0(VALU_DEP_3) | instskip(NEXT) | instid1(VALU_DEP_3)
	v_add_f64 v[7:8], v[7:8], v[102:103]
	v_add_f64 v[5:6], v[5:6], v[100:101]
	v_add_f64 v[102:103], v[96:97], -v[100:101]
	s_delay_alu instid0(VALU_DEP_4) | instskip(SKIP_2) | instid1(VALU_DEP_1)
	v_fma_f64 v[96:97], v[98:99], s[0:1], v[53:54]
	v_fma_f64 v[100:101], v[98:99], s[10:11], v[53:54]
	v_lshrrev_b32_e32 v53, 2, v210
	v_mul_u32_u24_e32 v53, 12, v53
	s_delay_alu instid0(VALU_DEP_1) | instskip(NEXT) | instid1(VALU_DEP_1)
	v_or_b32_e32 v53, v53, v4
	v_lshlrev_b32_e32 v53, 4, v53
	ds_store_b128 v53, v[0:3]
	ds_store_b128 v53, v[13:16] offset:64
	v_lshrrev_b32_e32 v0, 2, v169
	scratch_store_b32 off, v53, off offset:588 ; 4-byte Folded Spill
	ds_store_b128 v53, v[17:20] offset:128
	v_lshrrev_b32_e32 v1, 2, v58
	v_lshrrev_b32_e32 v2, 2, v59
	v_mul_u32_u24_e32 v0, 12, v0
	s_delay_alu instid0(VALU_DEP_3) | instskip(NEXT) | instid1(VALU_DEP_3)
	v_mul_u32_u24_e32 v1, 12, v1
	v_mul_u32_u24_e32 v2, 12, v2
	s_delay_alu instid0(VALU_DEP_3) | instskip(NEXT) | instid1(VALU_DEP_3)
	v_or_b32_e32 v0, v0, v4
	v_or_b32_e32 v1, v1, v4
	v_fma_f64 v[98:99], v[102:103], s[10:11], v[77:78]
	s_delay_alu instid0(VALU_DEP_3)
	v_lshlrev_b32_e32 v0, 4, v0
	ds_store_b128 v0, v[9:12]
	ds_store_b128 v0, v[21:24] offset:64
	scratch_store_b32 off, v0, off offset:584 ; 4-byte Folded Spill
	ds_store_b128 v0, v[25:28] offset:128
	v_lshrrev_b32_e32 v0, 2, v60
	v_fma_f64 v[102:103], v[102:103], s[0:1], v[77:78]
	v_or_b32_e32 v2, v2, v4
	s_mov_b32 s0, 0x36b3c0b5
	s_mov_b32 s1, 0x3fac98ee
	v_mul_u32_u24_e32 v0, 12, v0
	s_mov_b32 s10, 0x37c3f68c
	v_lshlrev_b32_e32 v2, 4, v2
	s_mov_b32 s11, 0x3fdc38aa
	s_delay_alu instid0(VALU_DEP_2) | instskip(NEXT) | instid1(VALU_DEP_1)
	v_or_b32_e32 v0, v0, v4
	v_lshlrev_b32_e32 v0, 4, v0
	ds_store_b128 v0, v[29:32]
	ds_store_b128 v0, v[37:40] offset:64
	scratch_store_b32 off, v0, off offset:580 ; 4-byte Folded Spill
	ds_store_b128 v0, v[41:44] offset:128
	v_lshrrev_b32_e32 v0, 2, v56
	s_delay_alu instid0(VALU_DEP_1) | instskip(NEXT) | instid1(VALU_DEP_1)
	v_mul_u32_u24_e32 v0, 12, v0
	v_or_b32_e32 v0, v0, v4
	s_delay_alu instid0(VALU_DEP_1)
	v_lshlrev_b32_e32 v9, 4, v0
	v_and_b32_e32 v0, 0xff, v210
	ds_store_b128 v9, v[33:36]
	ds_store_b128 v9, v[45:48] offset:64
	v_mul_lo_u16 v0, 0xab, v0
	scratch_store_b32 off, v9, off offset:572 ; 4-byte Folded Spill
	v_lshrrev_b16 v12, 11, v0
	v_lshrrev_b32_e32 v0, 2, v57
	s_delay_alu instid0(VALU_DEP_2) | instskip(NEXT) | instid1(VALU_DEP_2)
	v_mul_lo_u16 v3, v12, 12
	v_mul_u32_u24_e32 v0, 12, v0
	v_and_b32_e32 v12, 0xffff, v12
	s_delay_alu instid0(VALU_DEP_3) | instskip(NEXT) | instid1(VALU_DEP_3)
	v_sub_nc_u16 v3, v210, v3
	v_or_b32_e32 v0, v0, v4
	s_delay_alu instid0(VALU_DEP_3) | instskip(NEXT) | instid1(VALU_DEP_3)
	v_mul_u32_u24_e32 v12, 0x54, v12
	v_and_b32_e32 v13, 0xff, v3
	s_delay_alu instid0(VALU_DEP_3)
	v_lshlrev_b32_e32 v4, 4, v0
	v_lshlrev_b32_e32 v3, 4, v1
	ds_store_b128 v9, v[49:52] offset:128
	ds_store_b128 v4, v[61:64]
	ds_store_b128 v4, v[69:72] offset:64
	v_mad_u64_u32 v[0:1], null, 0x60, v13, s[2:3]
	scratch_store_b32 off, v4, off offset:576 ; 4-byte Folded Spill
	ds_store_b128 v4, v[73:76] offset:128
	ds_store_b128 v3, v[65:68]
	ds_store_b128 v3, v[88:91] offset:64
	scratch_store_b32 off, v3, off offset:568 ; 4-byte Folded Spill
	ds_store_b128 v3, v[92:95] offset:128
	ds_store_b128 v2, v[5:8]
	ds_store_b128 v2, v[96:99] offset:64
	scratch_store_b32 off, v2, off offset:564 ; 4-byte Folded Spill
	ds_store_b128 v2, v[100:103] offset:128
	s_waitcnt lgkmcnt(0)
	s_waitcnt_vscnt null, 0x0
	s_barrier
	buffer_gl0_inv
	s_clause 0x3
	global_load_b128 v[32:35], v[0:1], off offset:160
	global_load_b128 v[44:47], v[0:1], off offset:176
	;; [unrolled: 1-line block ×4, first 2 shown]
	ds_load_b128 v[2:5], v168 offset:2112
	ds_load_b128 v[6:9], v168 offset:4224
	;; [unrolled: 1-line block ×5, first 2 shown]
	v_add_lshl_u32 v185, v12, v13, 4
	s_waitcnt vmcnt(3) lgkmcnt(4)
	v_mul_f64 v[10:11], v[4:5], v[34:35]
	s_waitcnt vmcnt(2) lgkmcnt(3)
	v_mul_f64 v[28:29], v[8:9], v[46:47]
	v_mul_f64 v[30:31], v[6:7], v[46:47]
	;; [unrolled: 1-line block ×3, first 2 shown]
	s_clause 0x1
	scratch_store_b128 off, v[44:47], off offset:392
	scratch_store_b128 off, v[32:35], off offset:360
	s_waitcnt vmcnt(1)
	scratch_store_b128 off, v[48:51], off offset:376 ; 16-byte Folded Spill
	v_fma_f64 v[38:39], v[2:3], v[32:33], -v[10:11]
	v_fma_f64 v[42:43], v[6:7], v[44:45], -v[28:29]
	v_fma_f64 v[44:45], v[8:9], v[44:45], v[30:31]
	s_waitcnt lgkmcnt(0)
	v_mul_f64 v[6:7], v[16:17], v[50:51]
	v_mul_f64 v[8:9], v[14:15], v[50:51]
	v_fma_f64 v[40:41], v[4:5], v[32:33], v[26:27]
	ds_load_b128 v[2:5], v168 offset:13376
	v_fma_f64 v[46:47], v[14:15], v[48:49], -v[6:7]
	v_fma_f64 v[48:49], v[16:17], v[48:49], v[8:9]
	ds_load_b128 v[6:9], v168 offset:10560
	ds_load_b128 v[26:29], v168 offset:9856
	s_waitcnt vmcnt(0)
	scratch_store_b128 off, v[52:55], off offset:408 ; 16-byte Folded Spill
	s_waitcnt lgkmcnt(1)
	v_mul_f64 v[10:11], v[8:9], v[54:55]
	s_delay_alu instid0(VALU_DEP_1) | instskip(SKIP_1) | instid1(VALU_DEP_1)
	v_fma_f64 v[50:51], v[6:7], v[52:53], -v[10:11]
	v_mul_f64 v[6:7], v[6:7], v[54:55]
	v_fma_f64 v[52:53], v[8:9], v[52:53], v[6:7]
	v_and_b32_e32 v6, 0xff, v169
	s_delay_alu instid0(VALU_DEP_1) | instskip(NEXT) | instid1(VALU_DEP_1)
	v_mul_lo_u16 v6, 0xab, v6
	v_lshrrev_b16 v14, 11, v6
	s_delay_alu instid0(VALU_DEP_1) | instskip(NEXT) | instid1(VALU_DEP_1)
	v_mul_lo_u16 v6, v14, 12
	v_sub_nc_u16 v6, v169, v6
	s_delay_alu instid0(VALU_DEP_1) | instskip(NEXT) | instid1(VALU_DEP_1)
	v_and_b32_e32 v15, 0xff, v6
	v_mad_u64_u32 v[10:11], null, 0x60, v15, s[2:3]
	s_clause 0x1
	global_load_b128 v[56:59], v[10:11], off offset:160
	global_load_b128 v[34:37], v[10:11], off offset:176
	ds_load_b128 v[6:9], v168 offset:2816
	ds_load_b128 v[30:33], v168 offset:3520
	s_waitcnt vmcnt(1) lgkmcnt(1)
	v_mul_f64 v[16:17], v[8:9], v[58:59]
	scratch_store_b128 off, v[56:59], off offset:608 ; 16-byte Folded Spill
	s_waitcnt vmcnt(0)
	scratch_store_b128 off, v[34:37], off offset:540 ; 16-byte Folded Spill
	v_fma_f64 v[54:55], v[6:7], v[56:57], -v[16:17]
	v_mul_f64 v[6:7], v[6:7], v[58:59]
	s_delay_alu instid0(VALU_DEP_1) | instskip(SKIP_1) | instid1(VALU_DEP_1)
	v_fma_f64 v[56:57], v[8:9], v[56:57], v[6:7]
	v_mul_f64 v[6:7], v[24:25], v[36:37]
	v_fma_f64 v[58:59], v[22:23], v[34:35], -v[6:7]
	v_mul_f64 v[6:7], v[22:23], v[36:37]
	s_delay_alu instid0(VALU_DEP_1)
	v_fma_f64 v[61:62], v[24:25], v[34:35], v[6:7]
	s_clause 0x1
	global_load_b128 v[34:37], v[10:11], off offset:240
	global_load_b128 v[22:25], v[10:11], off offset:224
	s_waitcnt vmcnt(1)
	v_mul_f64 v[6:7], v[4:5], v[36:37]
	scratch_store_b128 off, v[34:37], off offset:624 ; 16-byte Folded Spill
	v_fma_f64 v[63:64], v[2:3], v[34:35], -v[6:7]
	v_mul_f64 v[2:3], v[2:3], v[36:37]
	s_delay_alu instid0(VALU_DEP_1)
	v_fma_f64 v[65:66], v[4:5], v[34:35], v[2:3]
	ds_load_b128 v[2:5], v168 offset:11264
	ds_load_b128 v[6:9], v168 offset:11968
	s_waitcnt vmcnt(0)
	scratch_store_b128 off, v[22:25], off offset:592 ; 16-byte Folded Spill
	s_clause 0x1
	global_load_b128 v[34:37], v[0:1], off offset:192
	global_load_b128 v[88:91], v[0:1], off offset:208
	s_waitcnt lgkmcnt(1)
	v_mul_f64 v[16:17], v[4:5], v[24:25]
	v_add_f64 v[140:141], v[56:57], v[65:66]
	v_add_f64 v[56:57], v[56:57], -v[65:66]
	s_delay_alu instid0(VALU_DEP_3) | instskip(SKIP_1) | instid1(VALU_DEP_1)
	v_fma_f64 v[67:68], v[2:3], v[22:23], -v[16:17]
	v_mul_f64 v[2:3], v[2:3], v[24:25]
	v_fma_f64 v[69:70], v[4:5], v[22:23], v[2:3]
	ds_load_b128 v[0:3], v168 offset:6336
	ds_load_b128 v[22:25], v168 offset:5632
	v_add_f64 v[142:143], v[61:62], v[69:70]
	s_waitcnt vmcnt(1) lgkmcnt(1)
	v_mul_f64 v[4:5], v[2:3], v[36:37]
	scratch_store_b128 off, v[34:37], off offset:524 ; 16-byte Folded Spill
	v_fma_f64 v[71:72], v[0:1], v[34:35], -v[4:5]
	v_mul_f64 v[0:1], v[0:1], v[36:37]
	s_delay_alu instid0(VALU_DEP_1)
	v_fma_f64 v[73:74], v[2:3], v[34:35], v[0:1]
	ds_load_b128 v[0:3], v168 offset:8448
	ds_load_b128 v[34:37], v168 offset:9152
	s_waitcnt vmcnt(0)
	scratch_store_b128 off, v[88:91], off offset:508 ; 16-byte Folded Spill
	s_waitcnt lgkmcnt(1)
	v_mul_f64 v[4:5], v[2:3], v[90:91]
	s_delay_alu instid0(VALU_DEP_1) | instskip(SKIP_1) | instid1(VALU_DEP_1)
	v_fma_f64 v[75:76], v[0:1], v[88:89], -v[4:5]
	v_mul_f64 v[0:1], v[0:1], v[90:91]
	v_fma_f64 v[77:78], v[2:3], v[88:89], v[0:1]
	v_and_b32_e32 v0, 0xff, v60
	s_delay_alu instid0(VALU_DEP_1) | instskip(NEXT) | instid1(VALU_DEP_1)
	v_mul_lo_u16 v0, 0xab, v0
	v_lshrrev_b16 v16, 11, v0
	s_delay_alu instid0(VALU_DEP_1) | instskip(NEXT) | instid1(VALU_DEP_1)
	v_mul_lo_u16 v0, v16, 12
	v_sub_nc_u16 v0, v60, v0
	s_delay_alu instid0(VALU_DEP_1) | instskip(NEXT) | instid1(VALU_DEP_1)
	v_and_b32_e32 v17, 0xff, v0
	v_mad_u64_u32 v[88:89], null, 0x60, v17, s[2:3]
	s_clause 0x3
	global_load_b128 v[200:203], v[88:89], off offset:160
	global_load_b128 v[188:191], v[88:89], off offset:176
	;; [unrolled: 1-line block ×4, first 2 shown]
	v_add_f64 v[128:129], v[73:74], v[77:78]
	s_waitcnt vmcnt(3)
	v_mul_f64 v[0:1], v[32:33], v[202:203]
	s_delay_alu instid0(VALU_DEP_1) | instskip(SKIP_1) | instid1(VALU_DEP_1)
	v_fma_f64 v[90:91], v[30:31], v[200:201], -v[0:1]
	v_mul_f64 v[0:1], v[30:31], v[202:203]
	v_fma_f64 v[92:93], v[32:33], v[200:201], v[0:1]
	s_waitcnt vmcnt(2)
	v_mul_f64 v[0:1], v[24:25], v[190:191]
	s_delay_alu instid0(VALU_DEP_1) | instskip(SKIP_1) | instid1(VALU_DEP_1)
	v_fma_f64 v[94:95], v[22:23], v[188:189], -v[0:1]
	v_mul_f64 v[0:1], v[22:23], v[190:191]
	v_fma_f64 v[100:101], v[24:25], v[188:189], v[0:1]
	ds_load_b128 v[0:3], v168 offset:14080
	s_clause 0x1
	global_load_b128 v[30:33], v[10:11], off offset:192
	global_load_b128 v[22:25], v[10:11], off offset:208
	s_waitcnt vmcnt(3) lgkmcnt(0)
	v_mul_f64 v[4:5], v[2:3], v[198:199]
	s_delay_alu instid0(VALU_DEP_1) | instskip(SKIP_1) | instid1(VALU_DEP_1)
	v_fma_f64 v[102:103], v[0:1], v[196:197], -v[4:5]
	v_mul_f64 v[0:1], v[0:1], v[198:199]
	v_fma_f64 v[112:113], v[2:3], v[196:197], v[0:1]
	s_waitcnt vmcnt(2)
	v_mul_f64 v[0:1], v[8:9], v[194:195]
	s_delay_alu instid0(VALU_DEP_2) | instskip(NEXT) | instid1(VALU_DEP_2)
	v_add_f64 v[152:153], v[92:93], v[112:113]
	v_fma_f64 v[114:115], v[6:7], v[192:193], -v[0:1]
	v_mul_f64 v[0:1], v[6:7], v[194:195]
	s_delay_alu instid0(VALU_DEP_1)
	v_fma_f64 v[116:117], v[8:9], v[192:193], v[0:1]
	ds_load_b128 v[0:3], v168 offset:7040
	ds_load_b128 v[4:7], v168 offset:7744
	v_add_f64 v[154:155], v[100:101], v[116:117]
	s_waitcnt vmcnt(1) lgkmcnt(1)
	v_mul_f64 v[8:9], v[2:3], v[32:33]
	scratch_store_b128 off, v[30:33], off offset:656 ; 16-byte Folded Spill
	s_waitcnt vmcnt(0)
	scratch_store_b128 off, v[22:25], off offset:640 ; 16-byte Folded Spill
	v_fma_f64 v[118:119], v[0:1], v[30:31], -v[8:9]
	v_mul_f64 v[0:1], v[0:1], v[32:33]
	v_add_f64 v[32:33], v[71:72], v[75:76]
	s_delay_alu instid0(VALU_DEP_2) | instskip(SKIP_3) | instid1(VALU_DEP_3)
	v_fma_f64 v[120:121], v[2:3], v[30:31], v[0:1]
	v_mul_f64 v[0:1], v[36:37], v[24:25]
	v_add_f64 v[30:31], v[38:39], v[46:47]
	v_add_f64 v[38:39], v[38:39], -v[46:47]
	v_fma_f64 v[122:123], v[34:35], v[22:23], -v[0:1]
	v_mul_f64 v[0:1], v[34:35], v[24:25]
	v_add_f64 v[34:35], v[40:41], v[48:49]
	v_add_f64 v[40:41], v[40:41], -v[48:49]
	s_delay_alu instid0(VALU_DEP_4) | instskip(NEXT) | instid1(VALU_DEP_4)
	v_add_f64 v[136:137], v[118:119], v[122:123]
	v_fma_f64 v[124:125], v[36:37], v[22:23], v[0:1]
	s_clause 0x1
	global_load_b128 v[22:25], v[88:89], off offset:192
	global_load_b128 v[8:11], v[88:89], off offset:208
	v_add_f64 v[36:37], v[44:45], v[52:53]
	v_add_f64 v[144:145], v[120:121], v[124:125]
	s_waitcnt vmcnt(1) lgkmcnt(0)
	v_mul_f64 v[0:1], v[6:7], v[24:25]
	scratch_store_b128 off, v[22:25], off offset:688 ; 16-byte Folded Spill
	s_waitcnt vmcnt(0)
	scratch_store_b128 off, v[8:11], off offset:672 ; 16-byte Folded Spill
	v_fma_f64 v[88:89], v[4:5], v[22:23], -v[0:1]
	v_mul_f64 v[0:1], v[4:5], v[24:25]
	s_delay_alu instid0(VALU_DEP_1) | instskip(SKIP_1) | instid1(VALU_DEP_1)
	v_fma_f64 v[126:127], v[6:7], v[22:23], v[0:1]
	v_mul_f64 v[0:1], v[28:29], v[10:11]
	v_fma_f64 v[132:133], v[26:27], v[8:9], -v[0:1]
	v_mul_f64 v[0:1], v[26:27], v[10:11]
	v_add_f64 v[26:27], v[42:43], v[50:51]
	s_delay_alu instid0(VALU_DEP_3) | instskip(NEXT) | instid1(VALU_DEP_3)
	v_add_f64 v[148:149], v[88:89], v[132:133]
	v_fma_f64 v[134:135], v[28:29], v[8:9], v[0:1]
	s_delay_alu instid0(VALU_DEP_3)
	v_add_f64 v[0:1], v[26:27], v[30:31]
	v_add_f64 v[46:47], v[26:27], -v[30:31]
	v_add_f64 v[48:49], v[32:33], -v[26:27]
	v_add_f64 v[30:31], v[30:31], -v[32:33]
	v_add_f64 v[156:157], v[126:127], v[134:135]
	v_add_f64 v[28:29], v[32:33], v[0:1]
	;; [unrolled: 1-line block ×3, first 2 shown]
	v_add_f64 v[32:33], v[34:35], -v[128:129]
	s_delay_alu instid0(VALU_DEP_2)
	v_add_f64 v[130:131], v[128:129], v[0:1]
	ds_load_b128 v[0:3], v168
	ds_load_b128 v[4:7], v168 offset:704
	s_waitcnt lgkmcnt(0)
	s_waitcnt_vscnt null, 0x0
	s_barrier
	buffer_gl0_inv
	v_add_f64 v[8:9], v[0:1], v[28:29]
	v_add_f64 v[0:1], v[54:55], v[63:64]
	;; [unrolled: 1-line block ×4, first 2 shown]
	s_delay_alu instid0(VALU_DEP_4) | instskip(NEXT) | instid1(VALU_DEP_3)
	v_fma_f64 v[206:207], v[28:29], s[14:15], v[8:9]
	v_fma_f64 v[130:131], v[130:131], s[14:15], v[10:11]
	s_delay_alu instid0(VALU_DEP_3) | instskip(NEXT) | instid1(VALU_DEP_1)
	v_add_f64 v[22:23], v[2:3], v[0:1]
	v_add_f64 v[138:139], v[136:137], v[22:23]
	;; [unrolled: 1-line block ×3, first 2 shown]
	s_delay_alu instid0(VALU_DEP_1) | instskip(NEXT) | instid1(VALU_DEP_3)
	v_add_f64 v[146:147], v[144:145], v[22:23]
	v_add_f64 v[22:23], v[4:5], v[138:139]
	;; [unrolled: 1-line block ×3, first 2 shown]
	s_delay_alu instid0(VALU_DEP_3) | instskip(SKIP_1) | instid1(VALU_DEP_1)
	v_add_f64 v[24:25], v[6:7], v[146:147]
	v_add_f64 v[6:7], v[94:95], v[114:115]
	;; [unrolled: 1-line block ×3, first 2 shown]
	s_delay_alu instid0(VALU_DEP_1) | instskip(SKIP_1) | instid1(VALU_DEP_1)
	v_add_f64 v[150:151], v[148:149], v[96:97]
	v_add_f64 v[96:97], v[154:155], v[152:153]
	;; [unrolled: 1-line block ×3, first 2 shown]
	s_delay_alu instid0(VALU_DEP_3)
	v_add_f64 v[96:97], v[18:19], v[150:151]
	v_add_f64 v[18:19], v[42:43], -v[50:51]
	v_add_f64 v[42:43], v[75:76], -v[71:72]
	;; [unrolled: 1-line block ×3, first 2 shown]
	v_add_f64 v[98:99], v[20:21], v[158:159]
	v_add_f64 v[20:21], v[44:45], -v[52:53]
	v_add_f64 v[44:45], v[77:78], -v[73:74]
	;; [unrolled: 1-line block ×4, first 2 shown]
	v_add_f64 v[26:27], v[42:43], v[18:19]
	v_add_f64 v[71:72], v[18:19], -v[38:39]
	v_add_f64 v[75:76], v[20:21], -v[40:41]
	;; [unrolled: 1-line block ×3, first 2 shown]
	v_add_f64 v[73:74], v[44:45], v[20:21]
	v_mul_f64 v[77:78], v[36:37], s[18:19]
	v_add_f64 v[204:205], v[26:27], v[38:39]
	v_add_f64 v[38:39], v[38:39], -v[42:43]
	v_mul_f64 v[34:35], v[71:72], s[12:13]
	v_mul_f64 v[42:43], v[30:31], s[22:23]
	;; [unrolled: 1-line block ×5, first 2 shown]
	v_fma_f64 v[26:27], v[71:72], s[12:13], -v[77:78]
	v_add_f64 v[73:74], v[73:74], v[40:41]
	v_add_f64 v[40:41], v[40:41], -v[44:45]
	v_mul_f64 v[44:45], v[32:33], s[22:23]
	v_fma_f64 v[30:31], v[38:39], s[26:27], -v[34:35]
	v_fma_f64 v[34:35], v[46:47], s[24:25], -v[42:43]
	v_fma_f64 v[38:39], v[38:39], s[20:21], v[77:78]
	v_fma_f64 v[20:21], v[50:51], s[16:17], -v[20:21]
	v_fma_f64 v[42:43], v[48:49], s[0:1], v[42:43]
	v_fma_f64 v[78:79], v[146:147], s[14:15], v[24:25]
	v_fma_f64 v[18:19], v[46:47], s[16:17], -v[18:19]
	v_fma_f64 v[28:29], v[204:205], s[10:11], v[26:27]
	v_fma_f64 v[26:27], v[75:76], s[12:13], -v[170:171]
	v_fma_f64 v[46:47], v[204:205], s[10:11], v[30:31]
	v_add_f64 v[34:35], v[34:35], v[206:207]
	v_add_f64 v[208:209], v[20:21], v[130:131]
	;; [unrolled: 1-line block ×4, first 2 shown]
	v_fma_f64 v[26:27], v[73:74], s[10:11], v[26:27]
	s_delay_alu instid0(VALU_DEP_4) | instskip(SKIP_1) | instid1(VALU_DEP_3)
	v_add_f64 v[20:21], v[28:29], v[208:209]
	v_add_f64 v[28:29], v[208:209], -v[28:29]
	v_add_f64 v[18:19], v[36:37], -v[26:27]
	v_add_f64 v[26:27], v[26:27], v[36:37]
	v_mul_f64 v[36:37], v[75:76], s[12:13]
	v_fma_f64 v[76:77], v[138:139], s[14:15], v[22:23]
	s_delay_alu instid0(VALU_DEP_2)
	v_fma_f64 v[32:33], v[40:41], s[26:27], -v[36:37]
	v_fma_f64 v[36:37], v[50:51], s[24:25], -v[44:45]
	v_fma_f64 v[44:45], v[52:53], s[0:1], v[44:45]
	v_fma_f64 v[40:41], v[40:41], s[20:21], v[170:171]
	v_add_f64 v[52:53], v[54:55], -v[63:64]
	v_add_f64 v[54:55], v[124:125], -v[120:121]
	v_fma_f64 v[50:51], v[73:74], s[10:11], v[32:33]
	v_add_f64 v[36:37], v[36:37], v[130:131]
	v_add_f64 v[44:45], v[44:45], v[130:131]
	v_fma_f64 v[48:49], v[73:74], s[10:11], v[40:41]
	s_delay_alu instid0(VALU_DEP_4) | instskip(NEXT) | instid1(VALU_DEP_4)
	v_add_f64 v[30:31], v[50:51], v[34:35]
	v_add_f64 v[32:33], v[36:37], -v[46:47]
	v_add_f64 v[36:37], v[46:47], v[36:37]
	v_fma_f64 v[46:47], v[204:205], s[10:11], v[38:39]
	v_add_f64 v[34:35], v[34:35], -v[50:51]
	v_add_f64 v[50:51], v[122:123], -v[118:119]
	v_add_f64 v[38:39], v[48:49], v[42:43]
	v_add_f64 v[42:43], v[42:43], -v[48:49]
	v_add_f64 v[48:49], v[61:62], -v[69:70]
	;; [unrolled: 1-line block ×5, first 2 shown]
	v_add_f64 v[44:45], v[46:47], v[44:45]
	v_add_f64 v[46:47], v[58:59], -v[67:68]
	v_add_f64 v[58:59], v[2:3], -v[0:1]
	;; [unrolled: 1-line block ×3, first 2 shown]
	v_add_f64 v[70:71], v[54:55], v[48:49]
	v_add_f64 v[72:73], v[48:49], -v[56:57]
	v_add_f64 v[0:1], v[0:1], -v[136:137]
	ds_store_b128 v185, v[8:11]
	ds_store_b128 v185, v[38:41] offset:192
	ds_store_b128 v185, v[30:33] offset:384
	ds_store_b128 v185, v[18:21] offset:576
	ds_store_b128 v185, v[26:29] offset:768
	ds_store_b128 v185, v[34:37] offset:960
	ds_store_b128 v185, v[42:45] offset:1152
	v_and_b32_e32 v8, 0xffff, v14
	v_add_f64 v[66:67], v[50:51], -v[46:47]
	v_add_f64 v[64:65], v[50:51], v[46:47]
	v_add_f64 v[68:69], v[46:47], -v[52:53]
	v_add_f64 v[46:47], v[54:55], -v[48:49]
	v_mul_f64 v[48:49], v[62:63], s[0:1]
	v_add_f64 v[54:55], v[56:57], -v[54:55]
	v_mul_f64 v[0:1], v[0:1], s[22:23]
	v_add_f64 v[70:71], v[70:71], v[56:57]
	v_mul_u32_u24_e32 v8, 0x54, v8
	s_delay_alu instid0(VALU_DEP_1) | instskip(SKIP_1) | instid1(VALU_DEP_1)
	v_add_lshl_u32 v9, v8, v15, 4
	v_and_b32_e32 v8, 0xffff, v16
	v_mul_u32_u24_e32 v8, 0x54, v8
	s_delay_alu instid0(VALU_DEP_1)
	v_add_lshl_u32 v8, v8, v17, 4
	v_mul_f64 v[66:67], v[66:67], s[18:19]
	v_add_f64 v[64:65], v[64:65], v[52:53]
	v_mul_f64 v[74:75], v[46:47], s[18:19]
	v_fma_f64 v[48:49], v[60:61], s[16:17], -v[48:49]
	v_mul_f64 v[46:47], v[2:3], s[0:1]
	v_fma_f64 v[118:119], v[68:69], s[12:13], -v[66:67]
	s_delay_alu instid0(VALU_DEP_4) | instskip(NEXT) | instid1(VALU_DEP_4)
	v_fma_f64 v[120:121], v[72:73], s[12:13], -v[74:75]
	v_add_f64 v[124:125], v[48:49], v[78:79]
	s_delay_alu instid0(VALU_DEP_4)
	v_fma_f64 v[46:47], v[58:59], s[16:17], -v[46:47]
	v_fma_f64 v[58:59], v[58:59], s[24:25], -v[0:1]
	v_fma_f64 v[0:1], v[2:3], s[0:1], v[0:1]
	v_fma_f64 v[118:119], v[64:65], s[10:11], v[118:119]
	;; [unrolled: 1-line block ×3, first 2 shown]
	v_add_f64 v[122:123], v[46:47], v[76:77]
	v_add_f64 v[58:59], v[58:59], v[76:77]
	;; [unrolled: 1-line block ×4, first 2 shown]
	v_add_f64 v[250:251], v[124:125], -v[118:119]
	v_add_f64 v[118:119], v[140:141], -v[144:145]
	;; [unrolled: 1-line block ×3, first 2 shown]
	v_mul_f64 v[52:53], v[72:73], s[12:13]
	v_mul_f64 v[50:51], v[68:69], s[12:13]
	v_add_f64 v[46:47], v[122:123], -v[120:121]
	v_add_f64 v[248:249], v[120:121], v[122:123]
	v_mul_f64 v[56:57], v[118:119], s[22:23]
	v_fma_f64 v[52:53], v[54:55], s[26:27], -v[52:53]
	v_fma_f64 v[50:51], v[124:125], s[26:27], -v[50:51]
	v_fma_f64 v[54:55], v[54:55], s[20:21], v[74:75]
	s_delay_alu instid0(VALU_DEP_4)
	v_fma_f64 v[60:61], v[60:61], s[24:25], -v[56:57]
	v_fma_f64 v[2:3], v[62:63], s[0:1], v[56:57]
	v_fma_f64 v[72:73], v[70:71], s[10:11], v[52:53]
	;; [unrolled: 1-line block ×3, first 2 shown]
	v_add_f64 v[62:63], v[134:135], -v[126:127]
	v_add_f64 v[60:61], v[60:61], v[78:79]
	v_add_f64 v[2:3], v[2:3], v[78:79]
	;; [unrolled: 1-line block ×3, first 2 shown]
	v_add_f64 v[120:121], v[58:59], -v[72:73]
	v_fma_f64 v[58:59], v[124:125], s[20:21], v[66:67]
	v_add_f64 v[66:67], v[6:7], -v[4:5]
	v_add_f64 v[6:7], v[148:149], -v[6:7]
	;; [unrolled: 1-line block ×4, first 2 shown]
	v_add_f64 v[122:123], v[68:69], v[60:61]
	v_fma_f64 v[60:61], v[70:71], s[10:11], v[54:55]
	v_add_f64 v[70:71], v[156:157], -v[154:155]
	v_fma_f64 v[58:59], v[64:65], s[10:11], v[58:59]
	v_add_f64 v[64:65], v[92:93], -v[112:113]
	v_fma_f64 v[92:93], v[150:151], s[14:15], v[96:97]
	v_mul_f64 v[4:5], v[4:5], s[22:23]
	v_add_f64 v[68:69], v[154:155], -v[152:153]
	v_add_f64 v[54:55], v[60:61], v[0:1]
	v_add_f64 v[128:129], v[0:1], -v[60:61]
	v_add_f64 v[56:57], v[2:3], -v[58:59]
	v_add_f64 v[130:131], v[58:59], v[2:3]
	v_add_f64 v[0:1], v[94:95], -v[114:115]
	v_add_f64 v[2:3], v[132:133], -v[88:89]
	;; [unrolled: 1-line block ×4, first 2 shown]
	v_mul_f64 v[88:89], v[6:7], s[0:1]
	v_mul_f64 v[90:91], v[70:71], s[0:1]
	v_fma_f64 v[94:95], v[158:159], s[14:15], v[98:99]
	ds_store_b128 v9, v[22:25]
	ds_store_b128 v9, v[54:57] offset:192
	ds_store_b128 v9, v[50:53] offset:384
	;; [unrolled: 1-line block ×5, first 2 shown]
	scratch_store_b32 off, v9, off offset:560 ; 4-byte Folded Spill
	v_add_f64 v[74:75], v[2:3], -v[0:1]
	v_add_f64 v[72:73], v[2:3], v[0:1]
	v_add_f64 v[0:1], v[0:1], -v[58:59]
	v_add_f64 v[78:79], v[62:63], -v[60:61]
	v_add_f64 v[76:77], v[62:63], v[60:61]
	v_add_f64 v[60:61], v[60:61], -v[64:65]
	v_fma_f64 v[88:89], v[66:67], s[16:17], -v[88:89]
	v_add_f64 v[62:63], v[64:65], -v[62:63]
	v_fma_f64 v[90:91], v[68:69], s[16:17], -v[90:91]
	v_mul_f64 v[74:75], v[74:75], s[18:19]
	v_add_f64 v[72:73], v[72:73], v[58:59]
	v_add_f64 v[58:59], v[58:59], -v[2:3]
	v_mul_f64 v[78:79], v[78:79], s[18:19]
	v_add_f64 v[76:77], v[76:77], v[64:65]
	v_mul_f64 v[2:3], v[60:61], s[12:13]
	v_add_f64 v[88:89], v[88:89], v[92:93]
	v_fma_f64 v[64:65], v[66:67], s[24:25], -v[4:5]
	v_fma_f64 v[4:5], v[6:7], s[0:1], v[4:5]
	v_add_f64 v[90:91], v[90:91], v[94:95]
	v_fma_f64 v[100:101], v[0:1], s[12:13], -v[74:75]
	v_mul_f64 v[0:1], v[0:1], s[12:13]
	v_fma_f64 v[2:3], v[62:63], s[26:27], -v[2:3]
	v_fma_f64 v[62:63], v[62:63], s[20:21], v[78:79]
	v_add_f64 v[4:5], v[4:5], v[92:93]
	v_fma_f64 v[112:113], v[72:73], s[10:11], v[100:101]
	v_fma_f64 v[100:101], v[60:61], s[12:13], -v[78:79]
	v_fma_f64 v[0:1], v[58:59], s[26:27], -v[0:1]
	v_fma_f64 v[58:59], v[58:59], s[20:21], v[74:75]
	s_delay_alu instid0(VALU_DEP_4) | instskip(NEXT) | instid1(VALU_DEP_4)
	v_add_f64 v[102:103], v[112:113], v[90:91]
	v_fma_f64 v[114:115], v[76:77], s[10:11], v[100:101]
	v_add_f64 v[146:147], v[90:91], -v[112:113]
	s_delay_alu instid0(VALU_DEP_4) | instskip(NEXT) | instid1(VALU_DEP_3)
	v_fma_f64 v[58:59], v[72:73], s[10:11], v[58:59]
	v_add_f64 v[100:101], v[88:89], -v[114:115]
	v_add_f64 v[144:145], v[114:115], v[88:89]
	v_add_f64 v[88:89], v[152:153], -v[156:157]
	s_delay_alu instid0(VALU_DEP_1) | instskip(NEXT) | instid1(VALU_DEP_1)
	v_mul_f64 v[60:61], v[88:89], s[22:23]
	v_fma_f64 v[6:7], v[70:71], s[0:1], v[60:61]
	v_fma_f64 v[66:67], v[68:69], s[24:25], -v[60:61]
	v_fma_f64 v[60:61], v[76:77], s[10:11], v[62:63]
	v_fma_f64 v[68:69], v[72:73], s[10:11], v[0:1]
	;; [unrolled: 1-line block ×3, first 2 shown]
	v_add_f64 v[2:3], v[64:65], v[92:93]
	v_cmp_gt_u16_e64 s0, 40, v210
	v_add_f64 v[6:7], v[6:7], v[94:95]
	v_add_f64 v[64:65], v[66:67], v[94:95]
	;; [unrolled: 1-line block ×3, first 2 shown]
	v_add_f64 v[4:5], v[4:5], -v[60:61]
	v_add_f64 v[140:141], v[0:1], v[2:3]
	v_add_f64 v[0:1], v[2:3], -v[0:1]
	v_add_f64 v[134:135], v[6:7], -v[58:59]
	v_add_f64 v[6:7], v[58:59], v[6:7]
	v_add_f64 v[142:143], v[64:65], -v[68:69]
	v_add_f64 v[2:3], v[68:69], v[64:65]
	ds_store_b128 v9, v[128:131] offset:1152
	ds_store_b128 v8, v[96:99]
	ds_store_b128 v8, v[132:135] offset:192
	ds_store_b128 v8, v[140:143] offset:384
	;; [unrolled: 1-line block ×5, first 2 shown]
	scratch_store_b32 off, v8, off offset:556 ; 4-byte Folded Spill
	ds_store_b128 v8, v[4:7] offset:1152
	s_waitcnt lgkmcnt(0)
	s_waitcnt_vscnt null, 0x0
	s_barrier
	buffer_gl0_inv
	ds_load_b128 v[252:255], v168
	ds_load_b128 v[212:215], v168 offset:1344
	ds_load_b128 v[12:15], v168 offset:2688
	;; [unrolled: 1-line block ×10, first 2 shown]
	s_and_saveexec_b32 s1, s0
	s_cbranch_execz .LBB0_13
; %bb.12:
	ds_load_b128 v[248:251], v168 offset:704
	ds_load_b128 v[120:123], v168 offset:2048
	;; [unrolled: 1-line block ×11, first 2 shown]
.LBB0_13:
	s_or_b32 exec_lo, exec_lo, s1
	scratch_load_b32 v24, off, off          ; 4-byte Folded Reload
	s_mov_b32 s22, 0xf8bb580b
	s_mov_b32 s14, 0x8eee2c13
	;; [unrolled: 1-line block ×26, first 2 shown]
	s_waitcnt vmcnt(0)
	v_mad_u64_u32 v[16:17], null, 0xa0, v24, s[2:3]
	s_clause 0x1
	global_load_b128 v[204:207], v[16:17], off offset:1312
	global_load_b128 v[224:227], v[16:17], off offset:1328
	s_waitcnt vmcnt(1) lgkmcnt(9)
	v_mul_f64 v[18:19], v[212:213], v[206:207]
	v_mul_f64 v[20:21], v[214:215], v[206:207]
	s_delay_alu instid0(VALU_DEP_2) | instskip(NEXT) | instid1(VALU_DEP_2)
	v_fma_f64 v[18:19], v[214:215], v[204:205], v[18:19]
	v_fma_f64 v[20:21], v[212:213], v[204:205], -v[20:21]
	s_clause 0x1
	global_load_b128 v[212:215], v[16:17], off offset:1456
	global_load_b128 v[216:219], v[16:17], off offset:1440
	v_add_f64 v[92:93], v[254:255], v[18:19]
	s_waitcnt vmcnt(1) lgkmcnt(0)
	v_mul_f64 v[22:23], v[228:229], v[214:215]
	s_delay_alu instid0(VALU_DEP_1) | instskip(SKIP_1) | instid1(VALU_DEP_2)
	v_fma_f64 v[52:53], v[230:231], v[212:213], v[22:23]
	v_mul_f64 v[22:23], v[230:231], v[214:215]
	v_add_f64 v[34:35], v[18:19], v[52:53]
	s_delay_alu instid0(VALU_DEP_2) | instskip(SKIP_4) | instid1(VALU_DEP_1)
	v_fma_f64 v[54:55], v[228:229], v[212:213], -v[22:23]
	s_clause 0x1
	global_load_b128 v[228:231], v[16:17], off offset:1344
	global_load_b128 v[232:235], v[16:17], off offset:1360
	v_mul_f64 v[22:23], v[14:15], v[226:227]
	v_fma_f64 v[58:59], v[12:13], v[224:225], -v[22:23]
	v_mul_f64 v[12:13], v[12:13], v[226:227]
	s_delay_alu instid0(VALU_DEP_1) | instskip(SKIP_2) | instid1(VALU_DEP_1)
	v_fma_f64 v[60:61], v[14:15], v[224:225], v[12:13]
	s_waitcnt vmcnt(2)
	v_mul_f64 v[12:13], v[8:9], v[218:219]
	v_fma_f64 v[56:57], v[10:11], v[216:217], v[12:13]
	v_mul_f64 v[10:11], v[10:11], v[218:219]
	s_delay_alu instid0(VALU_DEP_1) | instskip(SKIP_2) | instid1(VALU_DEP_1)
	v_fma_f64 v[62:63], v[8:9], v[216:217], -v[10:11]
	s_waitcnt vmcnt(1)
	v_mul_f64 v[8:9], v[238:239], v[230:231]
	v_fma_f64 v[64:65], v[236:237], v[228:229], -v[8:9]
	v_mul_f64 v[8:9], v[236:237], v[230:231]
	s_delay_alu instid0(VALU_DEP_1)
	v_fma_f64 v[66:67], v[238:239], v[228:229], v[8:9]
	s_clause 0x1
	global_load_b128 v[236:239], v[16:17], off offset:1424
	global_load_b128 v[240:243], v[16:17], off offset:1408
	s_waitcnt vmcnt(1)
	v_mul_f64 v[8:9], v[222:223], v[238:239]
	s_delay_alu instid0(VALU_DEP_1) | instskip(SKIP_1) | instid1(VALU_DEP_1)
	v_fma_f64 v[68:69], v[220:221], v[236:237], -v[8:9]
	v_mul_f64 v[8:9], v[220:221], v[238:239]
	v_fma_f64 v[70:71], v[222:223], v[236:237], v[8:9]
	v_mul_f64 v[8:9], v[210:211], v[234:235]
	s_delay_alu instid0(VALU_DEP_1) | instskip(SKIP_1) | instid1(VALU_DEP_1)
	v_fma_f64 v[78:79], v[208:209], v[232:233], -v[8:9]
	v_mul_f64 v[8:9], v[208:209], v[234:235]
	v_fma_f64 v[76:77], v[210:211], v[232:233], v[8:9]
	s_clause 0x1
	global_load_b128 v[208:211], v[16:17], off offset:1376
	global_load_b128 v[220:223], v[16:17], off offset:1392
	s_waitcnt vmcnt(2)
	v_mul_f64 v[8:9], v[138:139], v[242:243]
	s_delay_alu instid0(VALU_DEP_1) | instskip(SKIP_1) | instid1(VALU_DEP_1)
	v_fma_f64 v[72:73], v[136:137], v[240:241], -v[8:9]
	v_mul_f64 v[8:9], v[136:137], v[242:243]
	v_fma_f64 v[74:75], v[138:139], v[240:241], v[8:9]
	s_waitcnt vmcnt(1)
	v_mul_f64 v[8:9], v[126:127], v[210:211]
	s_delay_alu instid0(VALU_DEP_1) | instskip(SKIP_1) | instid1(VALU_DEP_1)
	v_fma_f64 v[136:137], v[124:125], v[208:209], -v[8:9]
	v_mul_f64 v[8:9], v[124:125], v[210:211]
	v_fma_f64 v[138:139], v[126:127], v[208:209], v[8:9]
	s_waitcnt vmcnt(0)
	v_mul_f64 v[8:9], v[90:91], v[222:223]
	s_delay_alu instid0(VALU_DEP_1) | instskip(SKIP_1) | instid1(VALU_DEP_2)
	v_fma_f64 v[124:125], v[88:89], v[220:221], -v[8:9]
	v_mul_f64 v[8:9], v[88:89], v[222:223]
	v_add_f64 v[156:157], v[136:137], v[124:125]
	s_delay_alu instid0(VALU_DEP_2) | instskip(SKIP_2) | instid1(VALU_DEP_2)
	v_fma_f64 v[126:127], v[90:91], v[220:221], v[8:9]
	v_subrev_nc_u32_e32 v8, 40, v24
	v_add_f64 v[154:155], v[136:137], -v[124:125]
	v_cndmask_b32_e64 v8, v8, v169, s0
	s_delay_alu instid0(VALU_DEP_1) | instskip(SKIP_1) | instid1(VALU_DEP_2)
	v_mul_i32_i24_e32 v9, 0xa0, v8
	v_mul_hi_i32_i24_e32 v10, 0xa0, v8
	v_add_co_u32 v8, s1, s2, v9
	s_delay_alu instid0(VALU_DEP_1)
	v_add_co_ci_u32_e64 v9, s1, s3, v10, s1
	s_clause 0x1
	global_load_b128 v[22:25], v[8:9], off offset:1312
	global_load_b128 v[12:15], v[8:9], off offset:1328
	s_mov_b32 s2, 0xd9c712b6
	s_mov_b32 s3, 0x3fda9628
	v_add_f64 v[152:153], v[138:139], -v[126:127]
	v_add_f64 v[158:159], v[138:139], v[126:127]
	s_waitcnt vmcnt(1)
	v_mul_f64 v[10:11], v[122:123], v[24:25]
	scratch_store_b128 off, v[22:25], off offset:788 ; 16-byte Folded Spill
	s_waitcnt vmcnt(0)
	scratch_store_b128 off, v[12:15], off offset:720 ; 16-byte Folded Spill
	v_fma_f64 v[48:49], v[120:121], v[22:23], -v[10:11]
	v_mul_f64 v[10:11], v[120:121], v[24:25]
	v_add_f64 v[120:121], v[60:61], -v[56:57]
	s_delay_alu instid0(VALU_DEP_2) | instskip(SKIP_2) | instid1(VALU_DEP_2)
	v_fma_f64 v[50:51], v[122:123], v[22:23], v[10:11]
	v_mul_f64 v[10:11], v[130:131], v[14:15]
	v_add_f64 v[122:123], v[58:59], v[62:63]
	v_fma_f64 v[173:174], v[128:129], v[12:13], -v[10:11]
	v_mul_f64 v[10:11], v[128:129], v[14:15]
	v_add_f64 v[128:129], v[60:61], v[56:57]
	s_delay_alu instid0(VALU_DEP_2)
	v_fma_f64 v[110:111], v[130:131], v[12:13], v[10:11]
	s_clause 0x1
	global_load_b128 v[12:15], v[8:9], off offset:1344
	global_load_b128 v[22:25], v[8:9], off offset:1360
	v_add_f64 v[130:131], v[64:65], v[68:69]
	s_waitcnt vmcnt(1)
	v_mul_f64 v[10:11], v[98:99], v[14:15]
	s_waitcnt vmcnt(0)
	scratch_store_b128 off, v[22:25], off offset:804 ; 16-byte Folded Spill
	v_fma_f64 v[160:161], v[96:97], v[12:13], -v[10:11]
	v_mul_f64 v[10:11], v[96:97], v[14:15]
	s_delay_alu instid0(VALU_DEP_1) | instskip(SKIP_1) | instid1(VALU_DEP_1)
	v_fma_f64 v[164:165], v[98:99], v[12:13], v[10:11]
	v_mul_f64 v[10:11], v[134:135], v[24:25]
	v_fma_f64 v[169:170], v[132:133], v[22:23], -v[10:11]
	v_mul_f64 v[10:11], v[132:133], v[24:25]
	v_add_f64 v[132:133], v[64:65], -v[68:69]
	s_delay_alu instid0(VALU_DEP_2)
	v_fma_f64 v[10:11], v[134:135], v[22:23], v[10:11]
	scratch_store_b128 off, v[12:15], off offset:772 ; 16-byte Folded Spill
	v_add_f64 v[134:135], v[66:67], v[70:71]
	scratch_store_b64 off, v[10:11], off offset:704 ; 8-byte Folded Spill
	s_clause 0x1
	global_load_b128 v[12:15], v[8:9], off offset:1376
	global_load_b128 v[22:25], v[8:9], off offset:1392
	s_waitcnt vmcnt(1)
	v_mul_f64 v[10:11], v[142:143], v[14:15]
	s_waitcnt vmcnt(0)
	scratch_store_b128 off, v[22:25], off offset:836 ; 16-byte Folded Spill
	v_fma_f64 v[166:167], v[140:141], v[12:13], -v[10:11]
	v_mul_f64 v[10:11], v[140:141], v[14:15]
	v_add_f64 v[140:141], v[76:77], -v[74:75]
	s_delay_alu instid0(VALU_DEP_2) | instskip(SKIP_4) | instid1(VALU_DEP_1)
	v_fma_f64 v[10:11], v[142:143], v[12:13], v[10:11]
	scratch_store_b128 off, v[12:15], off offset:820 ; 16-byte Folded Spill
	v_add_f64 v[142:143], v[78:79], v[72:73]
	scratch_store_b64 off, v[10:11], off offset:712 ; 8-byte Folded Spill
	v_mul_f64 v[10:11], v[102:103], v[24:25]
	v_fma_f64 v[162:163], v[100:101], v[22:23], -v[10:11]
	v_mul_f64 v[10:11], v[100:101], v[24:25]
	s_delay_alu instid0(VALU_DEP_1)
	v_fma_f64 v[186:187], v[102:103], v[22:23], v[10:11]
	s_clause 0x1
	global_load_b128 v[22:25], v[8:9], off offset:1408
	global_load_b128 v[12:15], v[8:9], off offset:1424
	s_waitcnt vmcnt(1)
	v_mul_f64 v[10:11], v[146:147], v[24:25]
	scratch_store_b128 off, v[22:25], off offset:852 ; 16-byte Folded Spill
	s_waitcnt vmcnt(0)
	scratch_store_b128 off, v[12:15], off offset:752 ; 16-byte Folded Spill
	v_fma_f64 v[183:184], v[144:145], v[22:23], -v[10:11]
	v_mul_f64 v[10:11], v[144:145], v[24:25]
	v_add_f64 v[144:145], v[78:79], -v[72:73]
	s_delay_alu instid0(VALU_DEP_2) | instskip(SKIP_2) | instid1(VALU_DEP_2)
	v_fma_f64 v[181:182], v[146:147], v[22:23], v[10:11]
	v_mul_f64 v[10:11], v[2:3], v[14:15]
	v_add_f64 v[146:147], v[76:77], v[74:75]
	v_fma_f64 v[179:180], v[0:1], v[12:13], -v[10:11]
	v_mul_f64 v[0:1], v[0:1], v[14:15]
	s_delay_alu instid0(VALU_DEP_1)
	v_fma_f64 v[177:178], v[2:3], v[12:13], v[0:1]
	s_clause 0x1
	global_load_b128 v[10:13], v[8:9], off offset:1440
	global_load_b128 v[14:17], v[8:9], off offset:1456
	s_clause 0x2
	scratch_store_b64 off, v[173:174], off offset:900
	scratch_store_b64 off, v[160:161], off offset:892
	;; [unrolled: 1-line block ×3, first 2 shown]
	s_waitcnt vmcnt(1)
	v_mul_f64 v[0:1], v[6:7], v[12:13]
	scratch_store_b128 off, v[10:13], off offset:736 ; 16-byte Folded Spill
	s_waitcnt vmcnt(0)
	scratch_store_b128 off, v[14:17], off offset:868 ; 16-byte Folded Spill
	v_fma_f64 v[108:109], v[4:5], v[10:11], -v[0:1]
	v_mul_f64 v[0:1], v[4:5], v[12:13]
	s_delay_alu instid0(VALU_DEP_1) | instskip(SKIP_2) | instid1(VALU_DEP_2)
	v_fma_f64 v[175:176], v[6:7], v[10:11], v[0:1]
	v_mul_f64 v[0:1], v[246:247], v[16:17]
	v_add_f64 v[10:11], v[20:21], v[54:55]
	v_fma_f64 v[171:172], v[244:245], v[14:15], -v[0:1]
	v_mul_f64 v[0:1], v[244:245], v[16:17]
	scratch_store_b64 off, v[171:172], off offset:908 ; 8-byte Folded Spill
	v_fma_f64 v[244:245], v[246:247], v[14:15], v[0:1]
	v_add_f64 v[0:1], v[18:19], -v[52:53]
	s_delay_alu instid0(VALU_DEP_1)
	v_mul_f64 v[2:3], v[0:1], s[22:23]
	v_mul_f64 v[4:5], v[0:1], s[14:15]
	v_mul_f64 v[6:7], v[0:1], s[24:25]
	v_mul_f64 v[8:9], v[0:1], s[26:27]
	v_mul_f64 v[0:1], v[0:1], s[18:19]
	v_fma_f64 v[12:13], v[10:11], s[16:17], -v[2:3]
	v_fma_f64 v[2:3], v[10:11], s[16:17], v[2:3]
	v_fma_f64 v[14:15], v[10:11], s[2:3], -v[4:5]
	v_fma_f64 v[4:5], v[10:11], s[2:3], v[4:5]
	;; [unrolled: 2-line block ×5, first 2 shown]
	v_add_f64 v[10:11], v[20:21], -v[54:55]
	v_add_f64 v[12:13], v[252:253], v[12:13]
	v_add_f64 v[14:15], v[252:253], v[14:15]
	;; [unrolled: 1-line block ×8, first 2 shown]
	v_mul_f64 v[26:27], v[10:11], s[22:23]
	v_mul_f64 v[28:29], v[10:11], s[14:15]
	;; [unrolled: 1-line block ×5, first 2 shown]
	v_fma_f64 v[36:37], v[34:35], s[16:17], v[26:27]
	v_fma_f64 v[38:39], v[34:35], s[2:3], v[28:29]
	v_fma_f64 v[40:41], v[34:35], s[2:3], -v[28:29]
	v_add_f64 v[28:29], v[252:253], v[20:21]
	v_add_f64 v[20:21], v[252:253], v[2:3]
	v_fma_f64 v[46:47], v[34:35], s[12:13], v[10:11]
	v_fma_f64 v[10:11], v[34:35], s[12:13], -v[10:11]
	v_fma_f64 v[26:27], v[34:35], s[16:17], -v[26:27]
	v_fma_f64 v[42:43], v[34:35], s[20:21], v[30:31]
	v_fma_f64 v[30:31], v[34:35], s[20:21], -v[30:31]
	v_fma_f64 v[44:45], v[34:35], s[10:11], v[32:33]
	v_fma_f64 v[32:33], v[34:35], s[10:11], -v[32:33]
	v_add_f64 v[18:19], v[254:255], v[36:37]
	v_add_f64 v[36:37], v[252:253], v[4:5]
	v_mul_f64 v[4:5], v[120:121], s[14:15]
	v_add_f64 v[34:35], v[254:255], v[38:39]
	v_add_f64 v[38:39], v[254:255], v[40:41]
	;; [unrolled: 1-line block ×10, first 2 shown]
	v_fma_f64 v[0:1], v[122:123], s[2:3], -v[4:5]
	v_fma_f64 v[4:5], v[122:123], s[2:3], v[4:5]
	s_delay_alu instid0(VALU_DEP_3) | instskip(NEXT) | instid1(VALU_DEP_3)
	v_add_f64 v[28:29], v[28:29], v[64:65]
	v_add_f64 v[0:1], v[0:1], v[12:13]
	v_add_f64 v[12:13], v[58:59], -v[62:63]
	s_delay_alu instid0(VALU_DEP_4) | instskip(SKIP_4) | instid1(VALU_DEP_3)
	v_add_f64 v[4:5], v[4:5], v[20:21]
	v_mul_f64 v[20:21], v[120:121], s[26:27]
	v_add_f64 v[58:59], v[92:93], v[60:61]
	v_add_f64 v[28:29], v[28:29], v[78:79]
	v_mul_f64 v[6:7], v[12:13], s[14:15]
	v_add_f64 v[58:59], v[58:59], v[66:67]
	s_delay_alu instid0(VALU_DEP_3) | instskip(NEXT) | instid1(VALU_DEP_3)
	v_add_f64 v[28:29], v[28:29], v[136:137]
	v_fma_f64 v[2:3], v[128:129], s[2:3], v[6:7]
	v_fma_f64 v[6:7], v[128:129], s[2:3], -v[6:7]
	s_delay_alu instid0(VALU_DEP_4) | instskip(NEXT) | instid1(VALU_DEP_4)
	v_add_f64 v[58:59], v[58:59], v[76:77]
	v_add_f64 v[28:29], v[28:29], v[124:125]
	s_delay_alu instid0(VALU_DEP_4) | instskip(SKIP_4) | instid1(VALU_DEP_4)
	v_add_f64 v[2:3], v[2:3], v[18:19]
	v_add_f64 v[18:19], v[66:67], -v[70:71]
	v_add_f64 v[6:7], v[6:7], v[26:27]
	v_add_f64 v[58:59], v[58:59], v[138:139]
	v_add_f64 v[28:29], v[28:29], v[72:73]
	v_mul_f64 v[8:9], v[18:19], s[24:25]
	v_mul_f64 v[26:27], v[18:19], s[28:29]
	s_delay_alu instid0(VALU_DEP_4) | instskip(NEXT) | instid1(VALU_DEP_4)
	v_add_f64 v[58:59], v[58:59], v[126:127]
	v_add_f64 v[28:29], v[28:29], v[68:69]
	s_delay_alu instid0(VALU_DEP_4) | instskip(SKIP_1) | instid1(VALU_DEP_4)
	v_fma_f64 v[10:11], v[130:131], s[20:21], -v[8:9]
	v_fma_f64 v[8:9], v[130:131], s[20:21], v[8:9]
	v_add_f64 v[58:59], v[58:59], v[74:75]
	s_delay_alu instid0(VALU_DEP_4) | instskip(NEXT) | instid1(VALU_DEP_4)
	v_add_f64 v[28:29], v[28:29], v[62:63]
	v_add_f64 v[0:1], v[10:11], v[0:1]
	v_mul_f64 v[10:11], v[132:133], s[24:25]
	v_add_f64 v[4:5], v[8:9], v[4:5]
	v_add_f64 v[58:59], v[58:59], v[70:71]
	;; [unrolled: 1-line block ×3, first 2 shown]
	s_delay_alu instid0(VALU_DEP_4) | instskip(SKIP_1) | instid1(VALU_DEP_4)
	v_fma_f64 v[40:41], v[134:135], s[20:21], v[10:11]
	v_fma_f64 v[8:9], v[134:135], s[20:21], -v[10:11]
	v_add_f64 v[56:57], v[58:59], v[56:57]
	s_delay_alu instid0(VALU_DEP_3) | instskip(SKIP_1) | instid1(VALU_DEP_4)
	v_add_f64 v[2:3], v[40:41], v[2:3]
	v_mul_f64 v[40:41], v[140:141], s[26:27]
	v_add_f64 v[6:7], v[8:9], v[6:7]
	s_delay_alu instid0(VALU_DEP_4) | instskip(NEXT) | instid1(VALU_DEP_3)
	v_add_f64 v[72:73], v[56:57], v[52:53]
	v_fma_f64 v[42:43], v[142:143], s[10:11], -v[40:41]
	v_fma_f64 v[8:9], v[142:143], s[10:11], v[40:41]
	s_delay_alu instid0(VALU_DEP_2) | instskip(SKIP_1) | instid1(VALU_DEP_3)
	v_add_f64 v[0:1], v[42:43], v[0:1]
	v_mul_f64 v[42:43], v[144:145], s[26:27]
	v_add_f64 v[4:5], v[8:9], v[4:5]
	s_delay_alu instid0(VALU_DEP_2) | instskip(SKIP_1) | instid1(VALU_DEP_2)
	v_fma_f64 v[44:45], v[146:147], s[10:11], v[42:43]
	v_fma_f64 v[8:9], v[146:147], s[10:11], -v[42:43]
	v_add_f64 v[2:3], v[44:45], v[2:3]
	v_mul_f64 v[44:45], v[152:153], s[18:19]
	s_delay_alu instid0(VALU_DEP_3) | instskip(NEXT) | instid1(VALU_DEP_2)
	v_add_f64 v[6:7], v[8:9], v[6:7]
	v_fma_f64 v[46:47], v[156:157], s[12:13], -v[44:45]
	v_fma_f64 v[8:9], v[156:157], s[12:13], v[44:45]
	s_delay_alu instid0(VALU_DEP_2) | instskip(SKIP_1) | instid1(VALU_DEP_3)
	v_add_f64 v[0:1], v[46:47], v[0:1]
	v_mul_f64 v[46:47], v[154:155], s[18:19]
	v_add_f64 v[4:5], v[8:9], v[4:5]
	v_fma_f64 v[8:9], v[122:123], s[10:11], -v[20:21]
	v_fma_f64 v[20:21], v[122:123], s[10:11], v[20:21]
	s_delay_alu instid0(VALU_DEP_4) | instskip(SKIP_1) | instid1(VALU_DEP_4)
	v_fma_f64 v[10:11], v[158:159], s[12:13], -v[46:47]
	v_fma_f64 v[112:113], v[158:159], s[12:13], v[46:47]
	v_add_f64 v[8:9], v[8:9], v[14:15]
	v_mul_f64 v[14:15], v[12:13], s[26:27]
	v_add_f64 v[20:21], v[20:21], v[36:37]
	v_add_f64 v[6:7], v[10:11], v[6:7]
	;; [unrolled: 1-line block ×3, first 2 shown]
	s_delay_alu instid0(VALU_DEP_4) | instskip(SKIP_1) | instid1(VALU_DEP_2)
	v_fma_f64 v[10:11], v[128:129], s[10:11], v[14:15]
	v_fma_f64 v[14:15], v[128:129], s[10:11], -v[14:15]
	v_add_f64 v[10:11], v[10:11], v[34:35]
	v_fma_f64 v[34:35], v[130:131], s[12:13], -v[26:27]
	v_fma_f64 v[26:27], v[130:131], s[12:13], v[26:27]
	s_delay_alu instid0(VALU_DEP_4) | instskip(NEXT) | instid1(VALU_DEP_3)
	v_add_f64 v[14:15], v[14:15], v[38:39]
	v_add_f64 v[8:9], v[34:35], v[8:9]
	v_mul_f64 v[34:35], v[132:133], s[28:29]
	s_delay_alu instid0(VALU_DEP_4) | instskip(NEXT) | instid1(VALU_DEP_2)
	v_add_f64 v[20:21], v[26:27], v[20:21]
	v_fma_f64 v[40:41], v[134:135], s[12:13], v[34:35]
	v_fma_f64 v[26:27], v[134:135], s[12:13], -v[34:35]
	s_delay_alu instid0(VALU_DEP_2) | instskip(SKIP_1) | instid1(VALU_DEP_3)
	v_add_f64 v[10:11], v[40:41], v[10:11]
	v_mul_f64 v[40:41], v[140:141], s[34:35]
	v_add_f64 v[14:15], v[26:27], v[14:15]
	s_delay_alu instid0(VALU_DEP_2) | instskip(SKIP_1) | instid1(VALU_DEP_2)
	v_fma_f64 v[42:43], v[142:143], s[20:21], -v[40:41]
	v_fma_f64 v[26:27], v[142:143], s[20:21], v[40:41]
	v_add_f64 v[8:9], v[42:43], v[8:9]
	v_mul_f64 v[42:43], v[144:145], s[34:35]
	s_delay_alu instid0(VALU_DEP_3) | instskip(NEXT) | instid1(VALU_DEP_2)
	v_add_f64 v[20:21], v[26:27], v[20:21]
	v_fma_f64 v[44:45], v[146:147], s[20:21], v[42:43]
	v_fma_f64 v[26:27], v[146:147], s[20:21], -v[42:43]
	s_delay_alu instid0(VALU_DEP_2) | instskip(SKIP_1) | instid1(VALU_DEP_3)
	v_add_f64 v[10:11], v[44:45], v[10:11]
	v_mul_f64 v[44:45], v[152:153], s[30:31]
	v_add_f64 v[14:15], v[26:27], v[14:15]
	s_delay_alu instid0(VALU_DEP_2) | instskip(SKIP_1) | instid1(VALU_DEP_2)
	v_fma_f64 v[46:47], v[156:157], s[16:17], -v[44:45]
	v_fma_f64 v[26:27], v[156:157], s[16:17], v[44:45]
	v_add_f64 v[8:9], v[46:47], v[8:9]
	v_mul_f64 v[46:47], v[154:155], s[30:31]
	s_delay_alu instid0(VALU_DEP_3) | instskip(NEXT) | instid1(VALU_DEP_2)
	v_add_f64 v[40:41], v[26:27], v[20:21]
	v_fma_f64 v[34:35], v[158:159], s[16:17], -v[46:47]
	v_fma_f64 v[112:113], v[158:159], s[16:17], v[46:47]
	s_delay_alu instid0(VALU_DEP_2) | instskip(SKIP_2) | instid1(VALU_DEP_4)
	v_add_f64 v[42:43], v[34:35], v[14:15]
	v_mul_f64 v[14:15], v[120:121], s[28:29]
	v_mul_f64 v[34:35], v[18:19], s[36:37]
	v_add_f64 v[10:11], v[112:113], v[10:11]
	v_mul_f64 v[112:113], v[152:153], s[26:27]
	s_delay_alu instid0(VALU_DEP_4) | instskip(NEXT) | instid1(VALU_DEP_4)
	v_fma_f64 v[20:21], v[122:123], s[12:13], -v[14:15]
	v_fma_f64 v[36:37], v[130:131], s[2:3], -v[34:35]
	v_fma_f64 v[14:15], v[122:123], s[12:13], v[14:15]
	s_delay_alu instid0(VALU_DEP_3) | instskip(SKIP_1) | instid1(VALU_DEP_3)
	v_add_f64 v[16:17], v[20:21], v[16:17]
	v_mul_f64 v[20:21], v[12:13], s[28:29]
	v_add_f64 v[14:15], v[14:15], v[90:91]
	s_delay_alu instid0(VALU_DEP_3) | instskip(NEXT) | instid1(VALU_DEP_3)
	v_add_f64 v[16:17], v[36:37], v[16:17]
	v_fma_f64 v[26:27], v[128:129], s[12:13], v[20:21]
	v_mul_f64 v[36:37], v[132:133], s[36:37]
	v_fma_f64 v[20:21], v[128:129], s[12:13], -v[20:21]
	s_delay_alu instid0(VALU_DEP_3) | instskip(NEXT) | instid1(VALU_DEP_3)
	v_add_f64 v[26:27], v[26:27], v[88:89]
	v_fma_f64 v[38:39], v[134:135], s[2:3], v[36:37]
	v_mul_f64 v[88:89], v[144:145], s[22:23]
	s_delay_alu instid0(VALU_DEP_4) | instskip(NEXT) | instid1(VALU_DEP_3)
	v_add_f64 v[20:21], v[20:21], v[30:31]
	v_add_f64 v[26:27], v[38:39], v[26:27]
	v_mul_f64 v[38:39], v[140:141], s[22:23]
	s_delay_alu instid0(VALU_DEP_1) | instskip(NEXT) | instid1(VALU_DEP_1)
	v_fma_f64 v[44:45], v[142:143], s[16:17], -v[38:39]
	v_add_f64 v[16:17], v[44:45], v[16:17]
	v_fma_f64 v[44:45], v[146:147], s[16:17], v[88:89]
	s_delay_alu instid0(VALU_DEP_1) | instskip(SKIP_1) | instid1(VALU_DEP_1)
	v_add_f64 v[26:27], v[44:45], v[26:27]
	v_fma_f64 v[44:45], v[156:157], s[10:11], -v[112:113]
	v_add_f64 v[44:45], v[44:45], v[16:17]
	v_mul_f64 v[16:17], v[154:155], s[26:27]
	s_delay_alu instid0(VALU_DEP_1) | instskip(SKIP_1) | instid1(VALU_DEP_2)
	v_fma_f64 v[46:47], v[158:159], s[10:11], v[16:17]
	v_fma_f64 v[16:17], v[158:159], s[10:11], -v[16:17]
	v_add_f64 v[46:47], v[46:47], v[26:27]
	v_fma_f64 v[26:27], v[130:131], s[2:3], v[34:35]
	s_delay_alu instid0(VALU_DEP_1) | instskip(SKIP_1) | instid1(VALU_DEP_1)
	v_add_f64 v[14:15], v[26:27], v[14:15]
	v_fma_f64 v[26:27], v[134:135], s[2:3], -v[36:37]
	v_add_f64 v[20:21], v[26:27], v[20:21]
	v_fma_f64 v[26:27], v[142:143], s[16:17], v[38:39]
	s_delay_alu instid0(VALU_DEP_1) | instskip(SKIP_1) | instid1(VALU_DEP_1)
	v_add_f64 v[14:15], v[26:27], v[14:15]
	v_fma_f64 v[26:27], v[146:147], s[16:17], -v[88:89]
	v_add_f64 v[20:21], v[26:27], v[20:21]
	v_fma_f64 v[26:27], v[156:157], s[10:11], v[112:113]
	s_delay_alu instid0(VALU_DEP_2) | instskip(NEXT) | instid1(VALU_DEP_2)
	v_add_f64 v[114:115], v[16:17], v[20:21]
	v_add_f64 v[112:113], v[26:27], v[14:15]
	v_mul_f64 v[14:15], v[120:121], s[34:35]
	v_mul_f64 v[26:27], v[18:19], s[22:23]
	;; [unrolled: 1-line block ×5, first 2 shown]
	v_fma_f64 v[16:17], v[122:123], s[20:21], -v[14:15]
	v_fma_f64 v[30:31], v[130:131], s[16:17], -v[26:27]
	v_fma_f64 v[14:15], v[122:123], s[20:21], v[14:15]
	s_delay_alu instid0(VALU_DEP_3) | instskip(SKIP_1) | instid1(VALU_DEP_3)
	v_add_f64 v[16:17], v[16:17], v[22:23]
	v_fma_f64 v[22:23], v[128:129], s[20:21], v[20:21]
	v_add_f64 v[14:15], v[14:15], v[96:97]
	v_fma_f64 v[20:21], v[128:129], s[20:21], -v[20:21]
	s_delay_alu instid0(VALU_DEP_4) | instskip(SKIP_2) | instid1(VALU_DEP_4)
	v_add_f64 v[16:17], v[30:31], v[16:17]
	v_mul_f64 v[30:31], v[132:133], s[22:23]
	v_add_f64 v[22:23], v[22:23], v[94:95]
	v_add_f64 v[20:21], v[20:21], v[32:33]
	v_mul_f64 v[32:33], v[154:155], s[24:25]
	s_delay_alu instid0(VALU_DEP_4) | instskip(NEXT) | instid1(VALU_DEP_1)
	v_fma_f64 v[34:35], v[134:135], s[16:17], v[30:31]
	v_add_f64 v[22:23], v[34:35], v[22:23]
	v_mul_f64 v[34:35], v[140:141], s[18:19]
	s_delay_alu instid0(VALU_DEP_1) | instskip(NEXT) | instid1(VALU_DEP_1)
	v_fma_f64 v[36:37], v[142:143], s[12:13], -v[34:35]
	v_add_f64 v[16:17], v[36:37], v[16:17]
	v_mul_f64 v[36:37], v[144:145], s[18:19]
	s_delay_alu instid0(VALU_DEP_1) | instskip(NEXT) | instid1(VALU_DEP_1)
	v_fma_f64 v[38:39], v[146:147], s[12:13], v[36:37]
	v_add_f64 v[22:23], v[38:39], v[22:23]
	v_mul_f64 v[38:39], v[152:153], s[36:37]
	s_delay_alu instid0(VALU_DEP_1) | instskip(NEXT) | instid1(VALU_DEP_1)
	v_fma_f64 v[88:89], v[156:157], s[2:3], -v[38:39]
	v_add_f64 v[116:117], v[88:89], v[16:17]
	v_mul_f64 v[16:17], v[154:155], s[36:37]
	s_delay_alu instid0(VALU_DEP_1) | instskip(SKIP_1) | instid1(VALU_DEP_2)
	v_fma_f64 v[88:89], v[158:159], s[2:3], v[16:17]
	v_fma_f64 v[16:17], v[158:159], s[2:3], -v[16:17]
	v_add_f64 v[118:119], v[88:89], v[22:23]
	v_fma_f64 v[22:23], v[130:131], s[16:17], v[26:27]
	v_add_f64 v[88:89], v[173:174], v[108:109]
	s_delay_alu instid0(VALU_DEP_2) | instskip(SKIP_1) | instid1(VALU_DEP_1)
	v_add_f64 v[14:15], v[22:23], v[14:15]
	v_fma_f64 v[22:23], v[134:135], s[16:17], -v[30:31]
	v_add_f64 v[20:21], v[22:23], v[20:21]
	v_fma_f64 v[22:23], v[142:143], s[12:13], v[34:35]
	s_delay_alu instid0(VALU_DEP_1) | instskip(SKIP_1) | instid1(VALU_DEP_1)
	v_add_f64 v[14:15], v[22:23], v[14:15]
	v_fma_f64 v[22:23], v[146:147], s[12:13], -v[36:37]
	v_add_f64 v[20:21], v[22:23], v[20:21]
	v_fma_f64 v[22:23], v[156:157], s[2:3], v[38:39]
	v_add_f64 v[38:39], v[48:49], -v[171:172]
	s_delay_alu instid0(VALU_DEP_3) | instskip(NEXT) | instid1(VALU_DEP_3)
	v_add_f64 v[150:151], v[16:17], v[20:21]
	v_add_f64 v[148:149], v[22:23], v[14:15]
	v_mul_f64 v[14:15], v[120:121], s[30:31]
	v_fma_f64 v[22:23], v[130:131], s[10:11], -v[18:19]
	v_fma_f64 v[20:21], v[128:129], s[16:17], v[12:13]
	v_fma_f64 v[12:13], v[128:129], s[16:17], -v[12:13]
	v_mul_f64 v[68:69], v[38:39], s[14:15]
	v_fma_f64 v[16:17], v[122:123], s[16:17], -v[14:15]
	v_fma_f64 v[14:15], v[122:123], s[16:17], v[14:15]
	v_add_f64 v[20:21], v[20:21], v[98:99]
	v_add_f64 v[12:13], v[12:13], v[102:103]
	;; [unrolled: 1-line block ×5, first 2 shown]
	s_delay_alu instid0(VALU_DEP_2) | instskip(SKIP_1) | instid1(VALU_DEP_1)
	v_add_f64 v[16:17], v[22:23], v[16:17]
	v_mul_f64 v[22:23], v[132:133], s[26:27]
	v_fma_f64 v[24:25], v[134:135], s[10:11], v[22:23]
	s_delay_alu instid0(VALU_DEP_1) | instskip(SKIP_2) | instid1(VALU_DEP_2)
	v_add_f64 v[20:21], v[24:25], v[20:21]
	v_mul_f64 v[24:25], v[140:141], s[36:37]
	v_add_f64 v[140:141], v[166:167], -v[162:163]
	v_fma_f64 v[26:27], v[142:143], s[2:3], -v[24:25]
	s_delay_alu instid0(VALU_DEP_1) | instskip(SKIP_1) | instid1(VALU_DEP_1)
	v_add_f64 v[16:17], v[26:27], v[16:17]
	v_mul_f64 v[26:27], v[144:145], s[36:37]
	v_fma_f64 v[30:31], v[146:147], s[2:3], v[26:27]
	s_delay_alu instid0(VALU_DEP_1) | instskip(SKIP_1) | instid1(VALU_DEP_1)
	v_add_f64 v[20:21], v[30:31], v[20:21]
	v_mul_f64 v[30:31], v[152:153], s[24:25]
	v_fma_f64 v[34:35], v[156:157], s[20:21], -v[30:31]
	s_delay_alu instid0(VALU_DEP_1) | instskip(SKIP_2) | instid1(VALU_DEP_2)
	v_add_f64 v[152:153], v[34:35], v[16:17]
	v_fma_f64 v[16:17], v[158:159], s[20:21], v[32:33]
	v_mul_f64 v[34:35], v[38:39], s[22:23]
	v_add_f64 v[154:155], v[16:17], v[20:21]
	v_fma_f64 v[16:17], v[130:131], s[10:11], v[18:19]
	v_fma_f64 v[18:19], v[134:135], s[10:11], -v[22:23]
	v_fma_f64 v[20:21], v[142:143], s[2:3], v[24:25]
	v_fma_f64 v[22:23], v[146:147], s[2:3], -v[26:27]
	v_add_f64 v[146:147], v[110:111], -v[175:176]
	v_add_f64 v[24:25], v[173:174], -v[108:109]
	v_dual_mov_b32 v173, v175 :: v_dual_mov_b32 v174, v176
	v_dual_mov_b32 v175, v177 :: v_dual_mov_b32 v176, v178
	;; [unrolled: 1-line block ×4, first 2 shown]
	s_delay_alu instid0(VALU_DEP_2)
	v_add_f64 v[132:133], v[160:161], v[177:178]
	v_add_f64 v[14:15], v[16:17], v[14:15]
	;; [unrolled: 1-line block ×3, first 2 shown]
	v_fma_f64 v[18:19], v[158:159], s[20:21], -v[32:33]
	v_add_f64 v[32:33], v[50:51], -v[244:245]
	v_fma_f64 v[16:17], v[156:157], s[20:21], v[30:31]
	v_add_f64 v[30:31], v[48:49], v[171:172]
	v_mul_f64 v[90:91], v[146:147], s[14:15]
	v_dual_mov_b32 v171, v244 :: v_dual_mov_b32 v172, v245
	v_mul_f64 v[26:27], v[24:25], s[14:15]
	v_mul_f64 v[52:53], v[146:147], s[26:27]
	;; [unrolled: 1-line block ×3, first 2 shown]
	s_delay_alu instid0(VALU_DEP_4)
	v_add_f64 v[36:37], v[50:51], v[171:172]
	v_add_f64 v[14:15], v[20:21], v[14:15]
	v_add_f64 v[20:21], v[160:161], -v[177:178]
	scratch_load_b64 v[160:161], off, off offset:704 ; 8-byte Folded Reload
	v_add_f64 v[12:13], v[22:23], v[12:13]
	v_mul_f64 v[94:95], v[32:33], s[22:23]
	v_add_f64 v[22:23], v[110:111], v[173:174]
	v_mul_f64 v[66:67], v[32:33], s[14:15]
	v_fma_f64 v[54:55], v[88:89], s[10:11], v[52:53]
	v_add_f64 v[156:157], v[16:17], v[14:15]
	v_fma_f64 v[14:15], v[88:89], s[2:3], v[90:91]
	v_add_f64 v[158:159], v[18:19], v[12:13]
	v_fma_f64 v[12:13], v[30:31], s[16:17], v[94:95]
	v_fma_f64 v[16:17], v[22:23], s[2:3], -v[26:27]
	v_mul_f64 v[18:19], v[20:21], s[24:25]
	v_fma_f64 v[28:29], v[30:31], s[2:3], v[66:67]
	v_fma_f64 v[58:59], v[22:23], s[10:11], -v[56:57]
	v_add_f64 v[12:13], v[248:249], v[12:13]
	s_delay_alu instid0(VALU_DEP_3) | instskip(NEXT) | instid1(VALU_DEP_2)
	v_add_f64 v[28:29], v[248:249], v[28:29]
	v_add_f64 v[14:15], v[14:15], v[12:13]
	v_fma_f64 v[12:13], v[36:37], s[16:17], -v[34:35]
	s_delay_alu instid0(VALU_DEP_3) | instskip(SKIP_1) | instid1(VALU_DEP_3)
	v_add_f64 v[54:55], v[54:55], v[28:29]
	v_fma_f64 v[28:29], v[36:37], s[2:3], -v[68:69]
	v_add_f64 v[12:13], v[250:251], v[12:13]
	s_delay_alu instid0(VALU_DEP_2) | instskip(NEXT) | instid1(VALU_DEP_2)
	v_add_f64 v[28:29], v[250:251], v[28:29]
	v_add_f64 v[96:97], v[16:17], v[12:13]
	v_add_f64 v[12:13], v[164:165], -v[175:176]
	s_delay_alu instid0(VALU_DEP_3) | instskip(NEXT) | instid1(VALU_DEP_2)
	v_add_f64 v[58:59], v[58:59], v[28:29]
	v_mul_f64 v[134:135], v[12:13], s[24:25]
	v_mul_f64 v[28:29], v[12:13], s[28:29]
	s_delay_alu instid0(VALU_DEP_2) | instskip(NEXT) | instid1(VALU_DEP_2)
	v_fma_f64 v[16:17], v[132:133], s[20:21], v[134:135]
	v_fma_f64 v[60:61], v[132:133], s[12:13], v[28:29]
	s_delay_alu instid0(VALU_DEP_2) | instskip(SKIP_1) | instid1(VALU_DEP_3)
	v_add_f64 v[14:15], v[16:17], v[14:15]
	v_add_f64 v[16:17], v[164:165], v[175:176]
	v_add_f64 v[54:55], v[60:61], v[54:55]
	v_mul_f64 v[60:61], v[20:21], s[28:29]
	s_waitcnt vmcnt(0)
	v_add_f64 v[130:131], v[160:161], -v[179:180]
	v_add_f64 v[142:143], v[160:161], v[179:180]
	v_fma_f64 v[98:99], v[16:17], s[20:21], -v[18:19]
	s_delay_alu instid0(VALU_DEP_4) | instskip(NEXT) | instid1(VALU_DEP_4)
	v_fma_f64 v[62:63], v[16:17], s[12:13], -v[60:61]
	v_mul_f64 v[120:121], v[130:131], s[26:27]
	s_delay_alu instid0(VALU_DEP_3) | instskip(NEXT) | instid1(VALU_DEP_3)
	v_add_f64 v[96:97], v[98:99], v[96:97]
	v_add_f64 v[64:65], v[62:63], v[58:59]
	v_mul_f64 v[58:59], v[130:131], s[34:35]
	s_delay_alu instid0(VALU_DEP_4) | instskip(NEXT) | instid1(VALU_DEP_2)
	v_fma_f64 v[98:99], v[102:103], s[10:11], v[120:121]
	v_fma_f64 v[62:63], v[102:103], s[20:21], v[58:59]
	s_delay_alu instid0(VALU_DEP_2)
	v_add_f64 v[122:123], v[98:99], v[14:15]
	v_add_f64 v[14:15], v[169:170], -v[183:184]
	scratch_load_b64 v[169:170], off, off offset:712 ; 8-byte Folded Reload
	ds_store_b128 v168, v[8:11] offset:2688
	ds_store_b128 v168, v[44:47] offset:4032
	;; [unrolled: 1-line block ×9, first 2 shown]
	ds_store_b128 v168, v[70:73]
	ds_store_b128 v168, v[4:7] offset:13440
	v_add_f64 v[74:75], v[62:63], v[54:55]
	v_mul_f64 v[144:145], v[14:15], s[26:27]
	v_mul_f64 v[62:63], v[14:15], s[34:35]
	s_delay_alu instid0(VALU_DEP_2) | instskip(NEXT) | instid1(VALU_DEP_2)
	v_fma_f64 v[98:99], v[142:143], s[10:11], -v[144:145]
	v_fma_f64 v[54:55], v[142:143], s[20:21], -v[62:63]
	s_delay_alu instid0(VALU_DEP_2) | instskip(SKIP_1) | instid1(VALU_DEP_3)
	v_add_f64 v[246:247], v[98:99], v[96:97]
	v_add_f64 v[96:97], v[166:167], v[162:163]
	;; [unrolled: 1-line block ×3, first 2 shown]
	s_waitcnt vmcnt(0)
	v_add_f64 v[100:101], v[169:170], -v[186:187]
	s_delay_alu instid0(VALU_DEP_1) | instskip(SKIP_1) | instid1(VALU_DEP_2)
	v_mul_f64 v[98:99], v[100:101], s[18:19]
	v_mul_f64 v[54:55], v[100:101], s[30:31]
	v_fma_f64 v[128:129], v[96:97], s[12:13], v[98:99]
	s_delay_alu instid0(VALU_DEP_2) | instskip(NEXT) | instid1(VALU_DEP_2)
	v_fma_f64 v[64:65], v[96:97], s[16:17], v[54:55]
	v_add_f64 v[244:245], v[128:129], v[122:123]
	v_add_f64 v[122:123], v[169:170], v[186:187]
	v_mul_f64 v[128:129], v[140:141], s[18:19]
	s_delay_alu instid0(VALU_DEP_1) | instskip(NEXT) | instid1(VALU_DEP_1)
	v_fma_f64 v[252:253], v[122:123], s[12:13], -v[128:129]
	v_add_f64 v[246:247], v[252:253], v[246:247]
	v_add_f64 v[252:253], v[64:65], v[74:75]
	v_mul_f64 v[64:65], v[140:141], s[30:31]
	s_delay_alu instid0(VALU_DEP_1) | instskip(NEXT) | instid1(VALU_DEP_1)
	v_fma_f64 v[74:75], v[122:123], s[16:17], -v[64:65]
	v_add_f64 v[254:255], v[74:75], v[76:77]
	s_and_saveexec_b32 s1, s0
	s_cbranch_execz .LBB0_15
; %bb.14:
	v_mul_f64 v[0:1], v[36:37], s[2:3]
	v_mul_f64 v[4:5], v[36:37], s[12:13]
	;; [unrolled: 1-line block ×5, first 2 shown]
	s_mov_b32 s39, 0x3fe82f19
	s_mov_b32 s38, s26
	v_mul_f64 v[2:3], v[30:31], s[2:3]
	v_mul_f64 v[112:113], v[100:101], s[24:25]
	v_add_f64 v[48:49], v[248:249], v[48:49]
	v_add_f64 v[50:51], v[250:251], v[50:51]
	;; [unrolled: 1-line block ×3, first 2 shown]
	v_fma_f64 v[6:7], v[38:39], s[28:29], v[4:5]
	v_fma_f64 v[4:5], v[38:39], s[18:19], v[4:5]
	;; [unrolled: 1-line block ×6, first 2 shown]
	v_add_f64 v[34:35], v[34:35], v[36:37]
	v_mul_f64 v[36:37], v[32:33], s[18:19]
	v_mul_f64 v[40:41], v[32:33], s[26:27]
	;; [unrolled: 1-line block ×3, first 2 shown]
	v_add_f64 v[2:3], v[2:3], -v[66:67]
	v_add_f64 v[50:51], v[50:51], v[110:111]
	v_add_f64 v[6:7], v[250:251], v[6:7]
	;; [unrolled: 1-line block ×8, first 2 shown]
	v_fma_f64 v[44:45], v[30:31], s[12:13], v[36:37]
	v_fma_f64 v[36:37], v[30:31], s[12:13], -v[36:37]
	v_fma_f64 v[46:47], v[30:31], s[10:11], -v[40:41]
	v_fma_f64 v[40:41], v[30:31], s[10:11], v[40:41]
	v_fma_f64 v[66:67], v[30:31], s[20:21], -v[32:33]
	v_fma_f64 v[32:33], v[30:31], s[20:21], v[32:33]
	v_mul_f64 v[30:31], v[30:31], s[16:17]
	v_add_f64 v[10:11], v[248:249], v[2:3]
	v_add_f64 v[50:51], v[50:51], v[164:165]
	;; [unrolled: 1-line block ×9, first 2 shown]
	v_add_f64 v[30:31], v[30:31], -v[94:95]
	v_mul_f64 v[94:95], v[122:123], s[20:21]
	v_add_f64 v[50:51], v[50:51], v[160:161]
	s_delay_alu instid0(VALU_DEP_3) | instskip(SKIP_1) | instid1(VALU_DEP_3)
	v_add_f64 v[72:73], v[248:249], v[30:31]
	v_mul_f64 v[30:31], v[22:23], s[16:17]
	v_add_f64 v[50:51], v[50:51], v[169:170]
	s_delay_alu instid0(VALU_DEP_2) | instskip(SKIP_1) | instid1(VALU_DEP_3)
	v_fma_f64 v[0:1], v[24:25], s[22:23], v[30:31]
	v_fma_f64 v[30:31], v[24:25], s[30:31], v[30:31]
	v_add_f64 v[50:51], v[50:51], v[186:187]
	s_delay_alu instid0(VALU_DEP_3) | instskip(SKIP_1) | instid1(VALU_DEP_4)
	v_add_f64 v[0:1], v[0:1], v[6:7]
	v_mul_f64 v[6:7], v[146:147], s[30:31]
	v_add_f64 v[4:5], v[30:31], v[4:5]
	s_delay_alu instid0(VALU_DEP_2) | instskip(SKIP_1) | instid1(VALU_DEP_2)
	v_fma_f64 v[2:3], v[88:89], s[16:17], v[6:7]
	v_fma_f64 v[6:7], v[88:89], s[16:17], -v[6:7]
	v_add_f64 v[2:3], v[2:3], v[44:45]
	v_mul_f64 v[44:45], v[16:17], s[10:11]
	s_delay_alu instid0(VALU_DEP_3) | instskip(SKIP_1) | instid1(VALU_DEP_3)
	v_add_f64 v[6:7], v[6:7], v[36:37]
	v_fma_f64 v[36:37], v[96:97], s[20:21], -v[112:113]
	v_fma_f64 v[74:75], v[20:21], s[38:39], v[44:45]
	v_fma_f64 v[30:31], v[20:21], s[26:27], v[44:45]
	v_mul_f64 v[44:45], v[16:17], s[12:13]
	s_delay_alu instid0(VALU_DEP_3) | instskip(SKIP_1) | instid1(VALU_DEP_4)
	v_add_f64 v[0:1], v[74:75], v[0:1]
	v_mul_f64 v[74:75], v[12:13], s[26:27]
	v_add_f64 v[4:5], v[30:31], v[4:5]
	s_delay_alu instid0(VALU_DEP_4) | instskip(SKIP_1) | instid1(VALU_DEP_4)
	v_add_f64 v[44:45], v[60:61], v[44:45]
	v_mul_f64 v[60:61], v[122:123], s[10:11]
	v_fma_f64 v[76:77], v[132:133], s[10:11], v[74:75]
	v_fma_f64 v[30:31], v[132:133], s[10:11], -v[74:75]
	v_mul_f64 v[74:75], v[16:17], s[16:17]
	s_delay_alu instid0(VALU_DEP_3) | instskip(SKIP_1) | instid1(VALU_DEP_4)
	v_add_f64 v[2:3], v[76:77], v[2:3]
	v_mul_f64 v[76:77], v[142:143], s[2:3]
	v_add_f64 v[6:7], v[30:31], v[6:7]
	s_delay_alu instid0(VALU_DEP_2) | instskip(SKIP_3) | instid1(VALU_DEP_4)
	v_fma_f64 v[78:79], v[14:15], s[14:15], v[76:77]
	v_fma_f64 v[30:31], v[14:15], s[36:37], v[76:77]
	;; [unrolled: 1-line block ×4, first 2 shown]
	v_add_f64 v[0:1], v[78:79], v[0:1]
	v_mul_f64 v[78:79], v[130:131], s[36:37]
	v_add_f64 v[4:5], v[30:31], v[4:5]
	s_delay_alu instid0(VALU_DEP_2)
	v_fma_f64 v[30:31], v[102:103], s[2:3], -v[78:79]
	v_fma_f64 v[92:93], v[102:103], s[2:3], v[78:79]
	scratch_load_b64 v[78:79], off, off offset:892 ; 8-byte Folded Reload
	v_add_f64 v[30:31], v[30:31], v[6:7]
	v_fma_f64 v[6:7], v[140:141], s[24:25], v[94:95]
	v_add_f64 v[92:93], v[92:93], v[2:3]
	v_fma_f64 v[2:3], v[140:141], s[34:35], v[94:95]
	v_mul_f64 v[94:95], v[102:103], s[10:11]
	s_delay_alu instid0(VALU_DEP_4)
	v_add_f64 v[6:7], v[6:7], v[4:5]
	v_add_f64 v[4:5], v[36:37], v[30:31]
	v_mul_f64 v[30:31], v[22:23], s[10:11]
	v_mul_f64 v[36:37], v[88:89], s[10:11]
	v_add_f64 v[2:3], v[2:3], v[0:1]
	v_fma_f64 v[0:1], v[96:97], s[20:21], v[112:113]
	v_add_f64 v[94:95], v[94:95], -v[120:121]
	v_add_f64 v[30:31], v[56:57], v[30:31]
	v_add_f64 v[36:37], v[36:37], -v[52:53]
	v_mul_f64 v[52:53], v[132:133], s[12:13]
	v_mul_f64 v[56:57], v[102:103], s[20:21]
	v_add_f64 v[0:1], v[0:1], v[92:93]
	v_add_f64 v[8:9], v[30:31], v[8:9]
	;; [unrolled: 1-line block ×3, first 2 shown]
	v_add_f64 v[28:29], v[52:53], -v[28:29]
	v_mul_f64 v[52:53], v[142:143], s[20:21]
	v_add_f64 v[56:57], v[56:57], -v[58:59]
	v_mul_f64 v[30:31], v[122:123], s[16:17]
	v_add_f64 v[8:9], v[44:45], v[8:9]
	v_mul_f64 v[44:45], v[16:17], s[2:3]
	v_add_f64 v[10:11], v[28:29], v[10:11]
	v_add_f64 v[52:53], v[62:63], v[52:53]
	v_mul_f64 v[28:29], v[96:97], s[16:17]
	v_add_f64 v[30:31], v[64:65], v[30:31]
	v_mul_f64 v[62:63], v[100:101], s[26:27]
	v_mul_f64 v[16:17], v[16:17], s[20:21]
	v_add_f64 v[36:37], v[56:57], v[10:11]
	v_add_f64 v[8:9], v[52:53], v[8:9]
	v_add_f64 v[28:29], v[28:29], -v[54:55]
	v_fma_f64 v[52:53], v[20:21], s[36:37], v[44:45]
	v_fma_f64 v[20:21], v[20:21], s[14:15], v[44:45]
	v_add_f64 v[16:17], v[18:19], v[16:17]
	v_add_f64 v[10:11], v[30:31], v[8:9]
	;; [unrolled: 1-line block ×3, first 2 shown]
	v_mul_f64 v[36:37], v[22:23], s[12:13]
	s_delay_alu instid0(VALU_DEP_1) | instskip(NEXT) | instid1(VALU_DEP_1)
	v_fma_f64 v[28:29], v[24:25], s[28:29], v[36:37]
	v_add_f64 v[28:29], v[28:29], v[42:43]
	v_mul_f64 v[42:43], v[146:147], s[28:29]
	s_delay_alu instid0(VALU_DEP_2) | instskip(NEXT) | instid1(VALU_DEP_2)
	v_add_f64 v[28:29], v[52:53], v[28:29]
	v_fma_f64 v[30:31], v[88:89], s[12:13], -v[42:43]
	v_mul_f64 v[52:53], v[12:13], s[36:37]
	v_fma_f64 v[42:43], v[88:89], s[12:13], v[42:43]
	v_mul_f64 v[12:13], v[12:13], s[22:23]
	s_delay_alu instid0(VALU_DEP_4) | instskip(NEXT) | instid1(VALU_DEP_4)
	v_add_f64 v[30:31], v[30:31], v[66:67]
	v_fma_f64 v[54:55], v[132:133], s[2:3], -v[52:53]
	v_mul_f64 v[66:67], v[88:89], s[2:3]
	v_fma_f64 v[44:45], v[132:133], s[2:3], v[52:53]
	v_mul_f64 v[52:53], v[132:133], s[20:21]
	v_fma_f64 v[18:19], v[132:133], s[16:17], -v[12:13]
	v_fma_f64 v[12:13], v[132:133], s[16:17], v[12:13]
	v_add_f64 v[32:33], v[42:43], v[32:33]
	v_mul_f64 v[42:43], v[122:123], s[12:13]
	v_add_f64 v[30:31], v[54:55], v[30:31]
	v_mul_f64 v[54:55], v[142:143], s[16:17]
	v_add_f64 v[66:67], v[66:67], -v[90:91]
	v_add_f64 v[52:53], v[52:53], -v[134:135]
	v_mul_f64 v[90:91], v[130:131], s[18:19]
	v_add_f64 v[42:43], v[128:129], v[42:43]
	v_fma_f64 v[56:57], v[14:15], s[22:23], v[54:55]
	s_delay_alu instid0(VALU_DEP_3) | instskip(SKIP_1) | instid1(VALU_DEP_3)
	v_fma_f64 v[92:93], v[102:103], s[12:13], -v[90:91]
	v_fma_f64 v[90:91], v[102:103], s[12:13], v[90:91]
	v_add_f64 v[28:29], v[56:57], v[28:29]
	v_mul_f64 v[56:57], v[130:131], s[22:23]
	s_delay_alu instid0(VALU_DEP_1) | instskip(SKIP_2) | instid1(VALU_DEP_3)
	v_fma_f64 v[58:59], v[102:103], s[16:17], -v[56:57]
	v_fma_f64 v[56:57], v[102:103], s[16:17], v[56:57]
	v_mul_f64 v[102:103], v[122:123], s[2:3]
	v_add_f64 v[58:59], v[58:59], v[30:31]
	v_fma_f64 v[30:31], v[140:141], s[26:27], v[60:61]
	s_delay_alu instid0(VALU_DEP_3) | instskip(SKIP_2) | instid1(VALU_DEP_4)
	v_fma_f64 v[112:113], v[140:141], s[36:37], v[102:103]
	v_fma_f64 v[102:103], v[140:141], s[14:15], v[102:103]
	;; [unrolled: 1-line block ×3, first 2 shown]
	v_add_f64 v[30:31], v[30:31], v[28:29]
	v_fma_f64 v[28:29], v[96:97], s[10:11], -v[62:63]
	s_delay_alu instid0(VALU_DEP_1)
	v_add_f64 v[28:29], v[28:29], v[58:59]
	scratch_load_b64 v[58:59], off, off offset:900 ; 8-byte Folded Reload
	s_waitcnt vmcnt(0)
	v_add_f64 v[48:49], v[48:49], v[58:59]
	v_mul_f64 v[58:59], v[22:23], s[20:21]
	v_mul_f64 v[22:23], v[22:23], s[2:3]
	s_delay_alu instid0(VALU_DEP_3) | instskip(SKIP_1) | instid1(VALU_DEP_3)
	v_add_f64 v[48:49], v[48:49], v[78:79]
	v_mul_f64 v[78:79], v[142:143], s[12:13]
	v_add_f64 v[22:23], v[26:27], v[22:23]
	v_mul_f64 v[26:27], v[146:147], s[34:35]
	v_fma_f64 v[64:65], v[24:25], s[34:35], v[58:59]
	v_fma_f64 v[58:59], v[24:25], s[24:25], v[58:59]
	;; [unrolled: 1-line block ×3, first 2 shown]
	v_add_f64 v[22:23], v[22:23], v[34:35]
	v_fma_f64 v[36:37], v[88:89], s[20:21], -v[26:27]
	v_fma_f64 v[26:27], v[88:89], s[20:21], v[26:27]
	v_fma_f64 v[88:89], v[14:15], s[18:19], v[78:79]
	;; [unrolled: 1-line block ×4, first 2 shown]
	scratch_load_b64 v[54:55], off, off offset:884 ; 8-byte Folded Reload
	v_add_f64 v[34:35], v[66:67], v[72:73]
	v_add_f64 v[64:65], v[64:65], v[70:71]
	;; [unrolled: 1-line block ×9, first 2 shown]
	v_mul_f64 v[34:35], v[100:101], s[36:37]
	v_add_f64 v[20:21], v[20:21], v[24:25]
	v_add_f64 v[24:25], v[44:45], v[32:33]
	v_mul_f64 v[44:45], v[96:97], s[12:13]
	v_add_f64 v[18:19], v[18:19], v[36:37]
	v_add_f64 v[36:37], v[74:75], v[46:47]
	;; [unrolled: 1-line block ×5, first 2 shown]
	v_fma_f64 v[38:39], v[96:97], s[2:3], -v[34:35]
	v_fma_f64 v[34:35], v[96:97], s[2:3], v[34:35]
	v_add_f64 v[20:21], v[14:15], v[20:21]
	v_add_f64 v[24:25], v[56:57], v[24:25]
	v_add_f64 v[44:45], v[44:45], -v[98:99]
	v_add_f64 v[18:19], v[92:93], v[18:19]
	v_add_f64 v[36:37], v[78:79], v[36:37]
	;; [unrolled: 1-line block ×3, first 2 shown]
	s_waitcnt vmcnt(0)
	v_add_f64 v[48:49], v[48:49], v[54:55]
	v_mul_f64 v[54:55], v[142:143], s[10:11]
	s_delay_alu instid0(VALU_DEP_2) | instskip(NEXT) | instid1(VALU_DEP_2)
	v_add_f64 v[48:49], v[48:49], v[166:167]
	v_add_f64 v[54:55], v[144:145], v[54:55]
	s_delay_alu instid0(VALU_DEP_2) | instskip(NEXT) | instid1(VALU_DEP_2)
	v_add_f64 v[48:49], v[48:49], v[162:163]
	v_add_f64 v[50:51], v[54:55], v[16:17]
	;; [unrolled: 1-line block ×3, first 2 shown]
	s_delay_alu instid0(VALU_DEP_3) | instskip(SKIP_1) | instid1(VALU_DEP_4)
	v_add_f64 v[40:41], v[48:49], v[183:184]
	v_add_f64 v[48:49], v[76:77], v[64:65]
	;; [unrolled: 1-line block ×3, first 2 shown]
	s_delay_alu instid0(VALU_DEP_3) | instskip(NEXT) | instid1(VALU_DEP_3)
	v_add_f64 v[32:33], v[40:41], v[177:178]
	v_add_f64 v[46:47], v[88:89], v[48:49]
	;; [unrolled: 1-line block ×5, first 2 shown]
	scratch_load_b64 v[36:37], off, off offset:908 ; 8-byte Folded Reload
	v_fma_f64 v[40:41], v[96:97], s[10:11], v[62:63]
	v_add_f64 v[32:33], v[32:33], v[108:109]
	v_add_f64 v[14:15], v[112:113], v[46:47]
	;; [unrolled: 1-line block ×6, first 2 shown]
	s_waitcnt vmcnt(0)
	v_add_f64 v[32:33], v[32:33], v[36:37]
	ds_store_b128 v168, v[8:11] offset:3392
	ds_store_b128 v168, v[28:31] offset:4736
	;; [unrolled: 1-line block ×11, first 2 shown]
.LBB0_15:
	s_or_b32 exec_lo, exec_lo, s1
	s_waitcnt lgkmcnt(0)
	s_waitcnt_vscnt null, 0x0
	s_barrier
	buffer_gl0_inv
	scratch_load_b64 v[0:1], off, off offset:4 ; 8-byte Folded Reload
	s_waitcnt vmcnt(0)
	global_load_b128 v[0:3], v[0:1], off offset:2496
	s_clause 0x1
	scratch_load_b32 v56, off, off offset:348
	scratch_load_b32 v57, off, off offset:352
	s_waitcnt vmcnt(1)
	v_add_co_u32 v22, s1, 0x5000, v56
	s_waitcnt vmcnt(0)
	v_add_co_ci_u32_e64 v23, s1, 0, v57, s1
	v_add_co_u32 v20, s1, 0x39c0, v56
	s_delay_alu instid0(VALU_DEP_1)
	v_add_co_ci_u32_e64 v21, s1, 0, v57, s1
	s_clause 0x4
	global_load_b128 v[4:7], v[22:23], off offset:1696
	global_load_b128 v[8:11], v[20:21], off offset:704
	;; [unrolled: 1-line block ×5, first 2 shown]
	v_add_co_u32 v68, s1, 0x4000, v56
	s_delay_alu instid0(VALU_DEP_1)
	v_add_co_ci_u32_e64 v69, s1, 0, v57, s1
	ds_load_b128 v[24:27], v168
	ds_load_b128 v[28:31], v168 offset:704
	v_add_co_u32 v96, s1, 0x6000, v56
	global_load_b128 v[32:35], v[68:69], off offset:4032
	ds_load_b128 v[36:39], v168 offset:7392
	ds_load_b128 v[40:43], v168 offset:8096
	v_add_co_ci_u32_e64 v97, s1, 0, v57, s1
	s_waitcnt lgkmcnt(3)
	v_mul_f64 v[44:45], v[26:27], v[2:3]
	v_mul_f64 v[2:3], v[24:25], v[2:3]
	s_delay_alu instid0(VALU_DEP_2) | instskip(NEXT) | instid1(VALU_DEP_2)
	v_fma_f64 v[24:25], v[24:25], v[0:1], -v[44:45]
	v_fma_f64 v[26:27], v[26:27], v[0:1], v[2:3]
	s_waitcnt vmcnt(5) lgkmcnt(1)
	v_mul_f64 v[46:47], v[38:39], v[6:7]
	v_mul_f64 v[6:7], v[36:37], v[6:7]
	s_waitcnt vmcnt(4)
	v_mul_f64 v[48:49], v[30:31], v[10:11]
	v_mul_f64 v[10:11], v[28:29], v[10:11]
	s_waitcnt vmcnt(3) lgkmcnt(0)
	v_mul_f64 v[50:51], v[42:43], v[250:251]
	v_fma_f64 v[0:1], v[36:37], v[4:5], -v[46:47]
	ds_load_b128 v[44:47], v168 offset:1408
	v_fma_f64 v[2:3], v[38:39], v[4:5], v[6:7]
	ds_load_b128 v[4:7], v168 offset:2112
	v_mul_f64 v[38:39], v[40:41], v[250:251]
	v_fma_f64 v[28:29], v[28:29], v[8:9], -v[48:49]
	v_fma_f64 v[30:31], v[30:31], v[8:9], v[10:11]
	global_load_b128 v[8:11], v[20:21], off offset:2112
	v_fma_f64 v[36:37], v[40:41], v[248:249], -v[50:51]
	global_load_b128 v[48:51], v[22:23], off offset:3808
	s_waitcnt vmcnt(4) lgkmcnt(1)
	v_mul_f64 v[52:53], v[46:47], v[14:15]
	v_mul_f64 v[14:15], v[44:45], v[14:15]
	v_fma_f64 v[38:39], v[42:43], v[248:249], v[38:39]
	ds_load_b128 v[40:43], v168 offset:8800
	v_fma_f64 v[44:45], v[44:45], v[12:13], -v[52:53]
	v_fma_f64 v[46:47], v[46:47], v[12:13], v[14:15]
	ds_load_b128 v[12:15], v168 offset:9504
	s_waitcnt vmcnt(3) lgkmcnt(1)
	v_mul_f64 v[52:53], v[42:43], v[18:19]
	v_mul_f64 v[18:19], v[40:41], v[18:19]
	s_delay_alu instid0(VALU_DEP_2) | instskip(NEXT) | instid1(VALU_DEP_2)
	v_fma_f64 v[40:41], v[40:41], v[16:17], -v[52:53]
	v_fma_f64 v[42:43], v[42:43], v[16:17], v[18:19]
	global_load_b128 v[16:19], v[20:21], off offset:2816
	s_waitcnt vmcnt(2)
	v_mul_f64 v[52:53], v[6:7], v[10:11]
	v_mul_f64 v[10:11], v[4:5], v[10:11]
	s_waitcnt vmcnt(1) lgkmcnt(0)
	v_mul_f64 v[54:55], v[14:15], v[50:51]
	v_mul_f64 v[50:51], v[12:13], v[50:51]
	s_delay_alu instid0(VALU_DEP_4) | instskip(NEXT) | instid1(VALU_DEP_4)
	v_fma_f64 v[4:5], v[4:5], v[8:9], -v[52:53]
	v_fma_f64 v[6:7], v[6:7], v[8:9], v[10:11]
	ds_load_b128 v[8:11], v168 offset:2816
	v_fma_f64 v[12:13], v[12:13], v[48:49], -v[54:55]
	v_fma_f64 v[14:15], v[14:15], v[48:49], v[50:51]
	ds_load_b128 v[48:51], v168 offset:3520
	s_waitcnt vmcnt(0) lgkmcnt(1)
	v_mul_f64 v[52:53], v[10:11], v[18:19]
	v_mul_f64 v[18:19], v[8:9], v[18:19]
	s_delay_alu instid0(VALU_DEP_2) | instskip(NEXT) | instid1(VALU_DEP_2)
	v_fma_f64 v[8:9], v[8:9], v[16:17], -v[52:53]
	v_fma_f64 v[10:11], v[10:11], v[16:17], v[18:19]
	global_load_b128 v[16:19], v[96:97], off offset:416
	ds_load_b128 v[52:55], v168 offset:10208
	ds_load_b128 v[56:59], v168 offset:10912
	global_load_b128 v[60:63], v[96:97], off offset:1120
	s_waitcnt vmcnt(1) lgkmcnt(1)
	v_mul_f64 v[64:65], v[54:55], v[18:19]
	v_mul_f64 v[18:19], v[52:53], v[18:19]
	s_delay_alu instid0(VALU_DEP_2) | instskip(NEXT) | instid1(VALU_DEP_2)
	v_fma_f64 v[52:53], v[52:53], v[16:17], -v[64:65]
	v_fma_f64 v[54:55], v[54:55], v[16:17], v[18:19]
	s_clause 0x1
	global_load_b128 v[16:19], v[22:23], off offset:640
	global_load_b128 v[64:67], v[20:21], off offset:3520
	s_waitcnt vmcnt(0)
	v_mul_f64 v[22:23], v[50:51], v[66:67]
	v_mul_f64 v[66:67], v[48:49], v[66:67]
	s_delay_alu instid0(VALU_DEP_2) | instskip(SKIP_3) | instid1(VALU_DEP_4)
	v_fma_f64 v[48:49], v[48:49], v[64:65], -v[22:23]
	s_waitcnt lgkmcnt(0)
	v_mul_f64 v[22:23], v[58:59], v[62:63]
	v_mul_f64 v[62:63], v[56:57], v[62:63]
	v_fma_f64 v[50:51], v[50:51], v[64:65], v[66:67]
	s_delay_alu instid0(VALU_DEP_3) | instskip(NEXT) | instid1(VALU_DEP_3)
	v_fma_f64 v[56:57], v[56:57], v[60:61], -v[22:23]
	v_fma_f64 v[58:59], v[58:59], v[60:61], v[62:63]
	s_clause 0x1
	global_load_b128 v[60:63], v[68:69], off offset:2624
	global_load_b128 v[64:67], v[68:69], off offset:3328
	ds_load_b128 v[68:71], v168 offset:4224
	ds_load_b128 v[72:75], v168 offset:4928
	s_waitcnt vmcnt(1) lgkmcnt(1)
	v_mul_f64 v[22:23], v[70:71], v[62:63]
	v_mul_f64 v[62:63], v[68:69], v[62:63]
	s_delay_alu instid0(VALU_DEP_2) | instskip(NEXT) | instid1(VALU_DEP_2)
	v_fma_f64 v[68:69], v[68:69], v[60:61], -v[22:23]
	v_fma_f64 v[70:71], v[70:71], v[60:61], v[62:63]
	s_clause 0x1
	global_load_b128 v[60:63], v[96:97], off offset:1824
	global_load_b128 v[76:79], v[96:97], off offset:2528
	ds_load_b128 v[88:91], v168 offset:11616
	ds_load_b128 v[92:95], v168 offset:12320
	s_waitcnt vmcnt(1) lgkmcnt(1)
	v_mul_f64 v[22:23], v[90:91], v[62:63]
	v_mul_f64 v[62:63], v[88:89], v[62:63]
	s_delay_alu instid0(VALU_DEP_2) | instskip(SKIP_1) | instid1(VALU_DEP_3)
	v_fma_f64 v[88:89], v[88:89], v[60:61], -v[22:23]
	v_mul_f64 v[22:23], v[74:75], v[66:67]
	v_fma_f64 v[90:91], v[90:91], v[60:61], v[62:63]
	v_mul_f64 v[62:63], v[72:73], v[66:67]
	s_waitcnt vmcnt(0) lgkmcnt(0)
	v_mul_f64 v[66:67], v[92:93], v[78:79]
	s_delay_alu instid0(VALU_DEP_4) | instskip(SKIP_1) | instid1(VALU_DEP_4)
	v_fma_f64 v[60:61], v[72:73], v[64:65], -v[22:23]
	v_mul_f64 v[22:23], v[94:95], v[78:79]
	v_fma_f64 v[62:63], v[74:75], v[64:65], v[62:63]
	s_delay_alu instid0(VALU_DEP_4) | instskip(NEXT) | instid1(VALU_DEP_3)
	v_fma_f64 v[66:67], v[94:95], v[76:77], v[66:67]
	v_fma_f64 v[64:65], v[92:93], v[76:77], -v[22:23]
	ds_load_b128 v[72:75], v168 offset:5632
	ds_load_b128 v[76:79], v168 offset:6336
	s_waitcnt lgkmcnt(1)
	v_mul_f64 v[22:23], v[74:75], v[34:35]
	v_mul_f64 v[34:35], v[72:73], v[34:35]
	s_delay_alu instid0(VALU_DEP_2) | instskip(NEXT) | instid1(VALU_DEP_2)
	v_fma_f64 v[72:73], v[72:73], v[32:33], -v[22:23]
	v_fma_f64 v[74:75], v[74:75], v[32:33], v[34:35]
	s_clause 0x1
	global_load_b128 v[32:35], v[96:97], off offset:3232
	global_load_b128 v[92:95], v[96:97], off offset:3936
	ds_load_b128 v[96:99], v168 offset:13024
	ds_load_b128 v[100:103], v168 offset:13728
	s_waitcnt vmcnt(1) lgkmcnt(1)
	v_mul_f64 v[22:23], v[98:99], v[34:35]
	v_mul_f64 v[34:35], v[96:97], v[34:35]
	s_delay_alu instid0(VALU_DEP_2) | instskip(SKIP_2) | instid1(VALU_DEP_4)
	v_fma_f64 v[96:97], v[96:97], v[32:33], -v[22:23]
	v_mul_f64 v[22:23], v[78:79], v[18:19]
	v_mul_f64 v[18:19], v[76:77], v[18:19]
	v_fma_f64 v[98:99], v[98:99], v[32:33], v[34:35]
	s_delay_alu instid0(VALU_DEP_3) | instskip(NEXT) | instid1(VALU_DEP_3)
	v_fma_f64 v[32:33], v[76:77], v[16:17], -v[22:23]
	v_fma_f64 v[34:35], v[78:79], v[16:17], v[18:19]
	s_waitcnt vmcnt(0) lgkmcnt(0)
	v_mul_f64 v[16:17], v[102:103], v[94:95]
	v_mul_f64 v[18:19], v[100:101], v[94:95]
	s_delay_alu instid0(VALU_DEP_2) | instskip(NEXT) | instid1(VALU_DEP_2)
	v_fma_f64 v[16:17], v[100:101], v[92:93], -v[16:17]
	v_fma_f64 v[18:19], v[102:103], v[92:93], v[18:19]
	ds_store_b128 v168, v[24:27]
	ds_store_b128 v168, v[28:31] offset:704
	ds_store_b128 v168, v[0:3] offset:7392
	;; [unrolled: 1-line block ×19, first 2 shown]
	s_and_saveexec_b32 s2, vcc_lo
	s_cbranch_execz .LBB0_17
; %bb.16:
	v_add_co_u32 v0, s1, 0x1000, v20
	s_delay_alu instid0(VALU_DEP_1) | instskip(SKIP_1) | instid1(VALU_DEP_1)
	v_add_co_ci_u32_e64 v1, s1, 0, v21, s1
	v_add_co_u32 v4, s1, 0x3000, v20
	v_add_co_ci_u32_e64 v5, s1, 0, v21, s1
	s_clause 0x1
	global_load_b128 v[0:3], v[0:1], off offset:2944
	global_load_b128 v[4:7], v[4:5], off offset:2144
	ds_load_b128 v[8:11], v168 offset:7040
	ds_load_b128 v[12:15], v168 offset:14432
	s_waitcnt vmcnt(1) lgkmcnt(1)
	v_mul_f64 v[16:17], v[10:11], v[2:3]
	v_mul_f64 v[2:3], v[8:9], v[2:3]
	s_waitcnt vmcnt(0) lgkmcnt(0)
	v_mul_f64 v[18:19], v[14:15], v[6:7]
	v_mul_f64 v[20:21], v[12:13], v[6:7]
	s_delay_alu instid0(VALU_DEP_4) | instskip(NEXT) | instid1(VALU_DEP_4)
	v_fma_f64 v[6:7], v[8:9], v[0:1], -v[16:17]
	v_fma_f64 v[8:9], v[10:11], v[0:1], v[2:3]
	s_delay_alu instid0(VALU_DEP_4) | instskip(NEXT) | instid1(VALU_DEP_4)
	v_fma_f64 v[0:1], v[12:13], v[4:5], -v[18:19]
	v_fma_f64 v[2:3], v[14:15], v[4:5], v[20:21]
	ds_store_b128 v168, v[6:9] offset:7040
	ds_store_b128 v168, v[0:3] offset:14432
.LBB0_17:
	s_or_b32 exec_lo, exec_lo, s2
	s_waitcnt lgkmcnt(0)
	s_barrier
	buffer_gl0_inv
	ds_load_b128 v[68:71], v168
	ds_load_b128 v[60:63], v168 offset:704
	ds_load_b128 v[72:75], v168 offset:7392
	;; [unrolled: 1-line block ×19, first 2 shown]
	s_and_saveexec_b32 s1, vcc_lo
	s_cbranch_execz .LBB0_19
; %bb.18:
	ds_load_b128 v[252:255], v168 offset:7040
	ds_load_b128 v[244:247], v168 offset:14432
.LBB0_19:
	s_or_b32 exec_lo, exec_lo, s1
	s_waitcnt lgkmcnt(0)
	s_barrier
	buffer_gl0_inv
	scratch_load_b32 v76, off, off offset:444 ; 4-byte Folded Reload
	v_add_f64 v[72:73], v[68:69], -v[72:73]
	v_add_f64 v[74:75], v[70:71], -v[74:75]
	;; [unrolled: 1-line block ×16, first 2 shown]
	v_fma_f64 v[68:69], v[68:69], 2.0, -v[72:73]
	v_fma_f64 v[70:71], v[70:71], 2.0, -v[74:75]
	;; [unrolled: 1-line block ×6, first 2 shown]
	s_waitcnt vmcnt(0)
	ds_store_b128 v76, v[72:75] offset:16
	ds_store_b128 v76, v[68:71]
	scratch_load_b32 v68, off, off offset:448 ; 4-byte Folded Reload
	v_fma_f64 v[8:9], v[8:9], 2.0, -v[32:33]
	v_fma_f64 v[10:11], v[10:11], 2.0, -v[34:35]
	;; [unrolled: 1-line block ×8, first 2 shown]
	s_waitcnt vmcnt(0)
	ds_store_b128 v68, v[60:63]
	ds_store_b128 v68, v[64:67] offset:16
	scratch_load_b32 v60, off, off offset:452 ; 4-byte Folded Reload
	v_fma_f64 v[62:63], v[2:3], 2.0, -v[50:51]
	s_waitcnt vmcnt(0)
	ds_store_b128 v60, v[52:55]
	ds_store_b128 v60, v[56:59] offset:16
	scratch_load_b32 v64, off, off offset:428 ; 4-byte Folded Reload
	v_fma_f64 v[60:61], v[0:1], 2.0, -v[48:49]
	v_add_f64 v[52:53], v[12:13], -v[4:5]
	v_add_f64 v[54:55], v[14:15], -v[6:7]
	;; [unrolled: 1-line block ×6, first 2 shown]
	s_waitcnt vmcnt(0)
	ds_store_b128 v64, v[60:63]
	ds_store_b128 v64, v[48:51] offset:16
	scratch_load_b32 v48, off, off offset:432 ; 4-byte Folded Reload
	v_fma_f64 v[12:13], v[12:13], 2.0, -v[52:53]
	v_fma_f64 v[14:15], v[14:15], 2.0, -v[54:55]
	;; [unrolled: 1-line block ×6, first 2 shown]
	s_waitcnt vmcnt(0)
	ds_store_b128 v48, v[8:11]
	ds_store_b128 v48, v[32:35] offset:16
	scratch_load_b32 v8, off, off offset:436 ; 4-byte Folded Reload
	s_waitcnt vmcnt(0)
	ds_store_b128 v8, v[12:15]
	ds_store_b128 v8, v[52:55] offset:16
	scratch_load_b32 v8, off, off offset:456 ; 4-byte Folded Reload
	;; [unrolled: 4-line block ×5, first 2 shown]
	s_waitcnt vmcnt(0)
	ds_store_b128 v8, v[28:31]
	ds_store_b128 v8, v[40:43] offset:16
	s_and_saveexec_b32 s1, vcc_lo
	s_cbranch_execz .LBB0_21
; %bb.20:
	scratch_load_b32 v8, off, off offset:768 ; 4-byte Folded Reload
	s_waitcnt vmcnt(0)
	ds_store_b128 v8, v[0:3]
	ds_store_b128 v8, v[4:7] offset:16
.LBB0_21:
	s_or_b32 exec_lo, exec_lo, s1
	s_waitcnt lgkmcnt(0)
	s_barrier
	buffer_gl0_inv
	ds_load_b128 v[32:35], v168
	ds_load_b128 v[28:31], v168 offset:704
	ds_load_b128 v[72:75], v168 offset:7392
	;; [unrolled: 1-line block ×19, first 2 shown]
	s_and_saveexec_b32 s1, vcc_lo
	s_cbranch_execz .LBB0_23
; %bb.22:
	ds_load_b128 v[0:3], v168 offset:7040
	ds_load_b128 v[4:7], v168 offset:14432
.LBB0_23:
	s_or_b32 exec_lo, exec_lo, s1
	s_waitcnt lgkmcnt(17)
	v_mul_f64 v[76:77], v[106:107], v[74:75]
	s_waitcnt lgkmcnt(0)
	s_barrier
	buffer_gl0_inv
	v_fma_f64 v[76:77], v[104:105], v[72:73], v[76:77]
	v_mul_f64 v[72:73], v[106:107], v[72:73]
	s_delay_alu instid0(VALU_DEP_1) | instskip(SKIP_1) | instid1(VALU_DEP_1)
	v_fma_f64 v[72:73], v[104:105], v[74:75], -v[72:73]
	v_mul_f64 v[74:75], v[106:107], v[66:67]
	v_fma_f64 v[74:75], v[104:105], v[64:65], v[74:75]
	v_mul_f64 v[64:65], v[106:107], v[64:65]
	s_delay_alu instid0(VALU_DEP_1) | instskip(SKIP_1) | instid1(VALU_DEP_1)
	v_fma_f64 v[64:65], v[104:105], v[66:67], -v[64:65]
	v_mul_f64 v[66:67], v[106:107], v[70:71]
	v_fma_f64 v[66:67], v[104:105], v[68:69], v[66:67]
	v_mul_f64 v[68:69], v[106:107], v[68:69]
	s_delay_alu instid0(VALU_DEP_1) | instskip(SKIP_1) | instid1(VALU_DEP_1)
	v_fma_f64 v[68:69], v[104:105], v[70:71], -v[68:69]
	v_mul_f64 v[70:71], v[106:107], v[58:59]
	v_fma_f64 v[70:71], v[104:105], v[56:57], v[70:71]
	v_mul_f64 v[56:57], v[106:107], v[56:57]
	s_delay_alu instid0(VALU_DEP_1) | instskip(SKIP_1) | instid1(VALU_DEP_1)
	v_fma_f64 v[56:57], v[104:105], v[58:59], -v[56:57]
	v_mul_f64 v[58:59], v[106:107], v[62:63]
	v_fma_f64 v[58:59], v[104:105], v[60:61], v[58:59]
	v_mul_f64 v[60:61], v[106:107], v[60:61]
	s_delay_alu instid0(VALU_DEP_1) | instskip(SKIP_1) | instid1(VALU_DEP_1)
	v_fma_f64 v[60:61], v[104:105], v[62:63], -v[60:61]
	v_mul_f64 v[62:63], v[106:107], v[50:51]
	v_fma_f64 v[62:63], v[104:105], v[48:49], v[62:63]
	v_mul_f64 v[48:49], v[106:107], v[48:49]
	s_delay_alu instid0(VALU_DEP_1) | instskip(SKIP_1) | instid1(VALU_DEP_1)
	v_fma_f64 v[48:49], v[104:105], v[50:51], -v[48:49]
	v_mul_f64 v[50:51], v[106:107], v[54:55]
	v_fma_f64 v[50:51], v[104:105], v[52:53], v[50:51]
	v_mul_f64 v[52:53], v[106:107], v[52:53]
	s_delay_alu instid0(VALU_DEP_1) | instskip(SKIP_1) | instid1(VALU_DEP_1)
	v_fma_f64 v[52:53], v[104:105], v[54:55], -v[52:53]
	v_mul_f64 v[54:55], v[106:107], v[42:43]
	v_fma_f64 v[54:55], v[104:105], v[40:41], v[54:55]
	v_mul_f64 v[40:41], v[106:107], v[40:41]
	s_delay_alu instid0(VALU_DEP_1) | instskip(SKIP_2) | instid1(VALU_DEP_2)
	v_fma_f64 v[78:79], v[104:105], v[42:43], -v[40:41]
	v_mul_f64 v[40:41], v[106:107], v[46:47]
	v_add_f64 v[42:43], v[246:247], -v[52:53]
	v_fma_f64 v[88:89], v[104:105], v[44:45], v[40:41]
	v_mul_f64 v[40:41], v[106:107], v[44:45]
	s_delay_alu instid0(VALU_DEP_2) | instskip(NEXT) | instid1(VALU_DEP_2)
	v_add_f64 v[52:53], v[12:13], -v[88:89]
	v_fma_f64 v[90:91], v[104:105], v[46:47], -v[40:41]
	v_mul_f64 v[40:41], v[106:107], v[38:39]
	v_fma_f64 v[46:47], v[246:247], 2.0, -v[42:43]
	s_delay_alu instid0(VALU_DEP_4) | instskip(NEXT) | instid1(VALU_DEP_3)
	v_fma_f64 v[12:13], v[12:13], 2.0, -v[52:53]
	v_fma_f64 v[92:93], v[104:105], v[36:37], v[40:41]
	v_mul_f64 v[36:37], v[106:107], v[36:37]
	v_add_f64 v[40:41], v[244:245], -v[50:51]
	v_add_f64 v[50:51], v[18:19], -v[78:79]
	s_delay_alu instid0(VALU_DEP_3) | instskip(SKIP_1) | instid1(VALU_DEP_4)
	v_fma_f64 v[94:95], v[104:105], v[38:39], -v[36:37]
	v_mul_f64 v[36:37], v[106:107], v[6:7]
	v_fma_f64 v[44:45], v[244:245], 2.0, -v[40:41]
	s_delay_alu instid0(VALU_DEP_4) | instskip(NEXT) | instid1(VALU_DEP_3)
	v_fma_f64 v[18:19], v[18:19], 2.0, -v[50:51]
	v_fma_f64 v[96:97], v[104:105], v[4:5], v[36:37]
	scratch_load_b32 v36, off, off offset:504 ; 4-byte Folded Reload
	v_mul_f64 v[4:5], v[106:107], v[4:5]
	s_delay_alu instid0(VALU_DEP_1) | instskip(SKIP_3) | instid1(VALU_DEP_4)
	v_fma_f64 v[98:99], v[104:105], v[6:7], -v[4:5]
	v_add_f64 v[4:5], v[32:33], -v[76:77]
	v_add_f64 v[6:7], v[34:35], -v[72:73]
	;; [unrolled: 1-line block ×4, first 2 shown]
	s_delay_alu instid0(VALU_DEP_4) | instskip(NEXT) | instid1(VALU_DEP_4)
	v_fma_f64 v[32:33], v[32:33], 2.0, -v[4:5]
	v_fma_f64 v[34:35], v[34:35], 2.0, -v[6:7]
	s_waitcnt vmcnt(0)
	ds_store_b128 v36, v[4:7] offset:32
	ds_store_b128 v36, v[32:35]
	scratch_load_b32 v32, off, off offset:500 ; 4-byte Folded Reload
	v_add_f64 v[4:5], v[28:29], -v[74:75]
	v_add_f64 v[6:7], v[30:31], -v[64:65]
	;; [unrolled: 1-line block ×5, first 2 shown]
	v_fma_f64 v[28:29], v[28:29], 2.0, -v[4:5]
	v_fma_f64 v[30:31], v[30:31], 2.0, -v[6:7]
	v_fma_f64 v[38:39], v[250:251], 2.0, -v[34:35]
	v_fma_f64 v[16:17], v[16:17], 2.0, -v[48:49]
	v_fma_f64 v[14:15], v[14:15], 2.0, -v[54:55]
	s_waitcnt vmcnt(0)
	ds_store_b128 v32, v[28:31]
	ds_store_b128 v32, v[4:7] offset:32
	scratch_load_b32 v28, off, off offset:496 ; 4-byte Folded Reload
	v_add_f64 v[4:5], v[24:25], -v[66:67]
	v_add_f64 v[6:7], v[26:27], -v[68:69]
	;; [unrolled: 1-line block ×3, first 2 shown]
	s_delay_alu instid0(VALU_DEP_3) | instskip(NEXT) | instid1(VALU_DEP_3)
	v_fma_f64 v[24:25], v[24:25], 2.0, -v[4:5]
	v_fma_f64 v[26:27], v[26:27], 2.0, -v[6:7]
	s_delay_alu instid0(VALU_DEP_3)
	v_fma_f64 v[36:37], v[248:249], 2.0, -v[32:33]
	s_waitcnt vmcnt(0)
	ds_store_b128 v28, v[24:27]
	ds_store_b128 v28, v[4:7] offset:32
	v_add_f64 v[26:27], v[254:255], -v[60:61]
	scratch_load_b32 v60, off, off offset:492 ; 4-byte Folded Reload
	v_add_f64 v[4:5], v[20:21], -v[70:71]
	v_add_f64 v[6:7], v[22:23], -v[56:57]
	;; [unrolled: 1-line block ×5, first 2 shown]
	v_fma_f64 v[30:31], v[254:255], 2.0, -v[26:27]
	v_fma_f64 v[20:21], v[20:21], 2.0, -v[4:5]
	;; [unrolled: 1-line block ×6, first 2 shown]
	s_waitcnt vmcnt(0)
	ds_store_b128 v60, v[20:23]
	ds_store_b128 v60, v[4:7] offset:32
	scratch_load_b32 v4, off, off offset:488 ; 4-byte Folded Reload
	s_waitcnt vmcnt(0)
	ds_store_b128 v4, v[28:31]
	ds_store_b128 v4, v[24:27] offset:32
	scratch_load_b32 v4, off, off offset:484 ; 4-byte Folded Reload
	;; [unrolled: 4-line block ×6, first 2 shown]
	s_waitcnt vmcnt(0)
	ds_store_b128 v4, v[8:11]
	ds_store_b128 v4, v[56:59] offset:32
	s_and_saveexec_b32 s1, vcc_lo
	s_cbranch_execz .LBB0_25
; %bb.24:
	s_clause 0x1
	scratch_load_b32 v4, off, off offset:356
	scratch_load_b32 v5, off, off offset:424
	v_fma_f64 v[2:3], v[2:3], 2.0, -v[106:107]
	v_fma_f64 v[0:1], v[0:1], 2.0, -v[104:105]
	s_waitcnt vmcnt(0)
	v_and_or_b32 v4, 0x3fc, v5, v4
	s_delay_alu instid0(VALU_DEP_1)
	v_lshlrev_b32_e32 v4, 4, v4
	ds_store_b128 v4, v[0:3]
	ds_store_b128 v4, v[104:107] offset:32
.LBB0_25:
	s_or_b32 exec_lo, exec_lo, s1
	s_waitcnt lgkmcnt(0)
	s_barrier
	buffer_gl0_inv
	ds_load_b128 v[0:3], v168 offset:4928
	ds_load_b128 v[4:7], v168 offset:4224
	s_mov_b32 s2, 0xe8584caa
	s_mov_b32 s3, 0xbfebb67a
	;; [unrolled: 1-line block ×18, first 2 shown]
	s_waitcnt lgkmcnt(1)
	v_mul_f64 v[8:9], v[86:87], v[2:3]
	s_mov_b32 s26, s20
	s_mov_b32 s24, s16
	s_delay_alu instid0(VALU_DEP_1) | instskip(SKIP_1) | instid1(VALU_DEP_1)
	v_fma_f64 v[12:13], v[84:85], v[0:1], v[8:9]
	v_mul_f64 v[0:1], v[86:87], v[0:1]
	v_fma_f64 v[14:15], v[84:85], v[2:3], -v[0:1]
	ds_load_b128 v[0:3], v168 offset:5632
	ds_load_b128 v[8:11], v168 offset:6336
	s_waitcnt lgkmcnt(1)
	v_mul_f64 v[16:17], v[86:87], v[2:3]
	s_delay_alu instid0(VALU_DEP_1) | instskip(SKIP_1) | instid1(VALU_DEP_1)
	v_fma_f64 v[36:37], v[84:85], v[0:1], v[16:17]
	v_mul_f64 v[0:1], v[86:87], v[0:1]
	v_fma_f64 v[38:39], v[84:85], v[2:3], -v[0:1]
	s_waitcnt lgkmcnt(0)
	v_mul_f64 v[0:1], v[86:87], v[10:11]
	s_delay_alu instid0(VALU_DEP_1) | instskip(SKIP_1) | instid1(VALU_DEP_1)
	v_fma_f64 v[40:41], v[84:85], v[8:9], v[0:1]
	v_mul_f64 v[0:1], v[86:87], v[8:9]
	v_fma_f64 v[42:43], v[84:85], v[10:11], -v[0:1]
	ds_load_b128 v[0:3], v168 offset:7040
	ds_load_b128 v[8:11], v168 offset:7744
	s_waitcnt lgkmcnt(1)
	v_mul_f64 v[16:17], v[86:87], v[2:3]
	s_delay_alu instid0(VALU_DEP_1) | instskip(SKIP_1) | instid1(VALU_DEP_1)
	v_fma_f64 v[44:45], v[84:85], v[0:1], v[16:17]
	v_mul_f64 v[0:1], v[86:87], v[0:1]
	v_fma_f64 v[46:47], v[84:85], v[2:3], -v[0:1]
	s_waitcnt lgkmcnt(0)
	v_mul_f64 v[0:1], v[86:87], v[10:11]
	;; [unrolled: 14-line block ×4, first 2 shown]
	s_delay_alu instid0(VALU_DEP_2) | instskip(NEXT) | instid1(VALU_DEP_2)
	v_add_f64 v[22:23], v[14:15], v[18:19]
	v_fma_f64 v[60:61], v[80:81], v[8:9], v[0:1]
	v_mul_f64 v[0:1], v[82:83], v[8:9]
	s_delay_alu instid0(VALU_DEP_1) | instskip(SKIP_4) | instid1(VALU_DEP_1)
	v_fma_f64 v[62:63], v[80:81], v[10:11], -v[0:1]
	ds_load_b128 v[0:3], v168 offset:11264
	ds_load_b128 v[8:11], v168 offset:11968
	s_waitcnt lgkmcnt(1)
	v_mul_f64 v[20:21], v[82:83], v[2:3]
	v_fma_f64 v[64:65], v[80:81], v[0:1], v[20:21]
	v_mul_f64 v[0:1], v[82:83], v[0:1]
	s_delay_alu instid0(VALU_DEP_1) | instskip(SKIP_2) | instid1(VALU_DEP_1)
	v_fma_f64 v[66:67], v[80:81], v[2:3], -v[0:1]
	s_waitcnt lgkmcnt(0)
	v_mul_f64 v[0:1], v[82:83], v[10:11]
	v_fma_f64 v[68:69], v[80:81], v[8:9], v[0:1]
	v_mul_f64 v[0:1], v[82:83], v[8:9]
	s_delay_alu instid0(VALU_DEP_1) | instskip(SKIP_4) | instid1(VALU_DEP_1)
	v_fma_f64 v[70:71], v[80:81], v[10:11], -v[0:1]
	ds_load_b128 v[0:3], v168 offset:12672
	ds_load_b128 v[8:11], v168 offset:13376
	s_waitcnt lgkmcnt(1)
	v_mul_f64 v[20:21], v[82:83], v[2:3]
	v_fma_f64 v[72:73], v[80:81], v[0:1], v[20:21]
	v_mul_f64 v[0:1], v[82:83], v[0:1]
	v_add_f64 v[20:21], v[12:13], v[16:17]
	s_delay_alu instid0(VALU_DEP_2) | instskip(SKIP_2) | instid1(VALU_DEP_1)
	v_fma_f64 v[74:75], v[80:81], v[2:3], -v[0:1]
	s_waitcnt lgkmcnt(0)
	v_mul_f64 v[0:1], v[82:83], v[10:11]
	v_fma_f64 v[76:77], v[80:81], v[8:9], v[0:1]
	v_mul_f64 v[0:1], v[82:83], v[8:9]
	s_delay_alu instid0(VALU_DEP_1) | instskip(SKIP_3) | instid1(VALU_DEP_1)
	v_fma_f64 v[78:79], v[80:81], v[10:11], -v[0:1]
	ds_load_b128 v[0:3], v168 offset:14080
	s_waitcnt lgkmcnt(0)
	v_mul_f64 v[8:9], v[82:83], v[2:3]
	v_fma_f64 v[84:85], v[80:81], v[0:1], v[8:9]
	v_mul_f64 v[0:1], v[82:83], v[0:1]
	s_delay_alu instid0(VALU_DEP_1)
	v_fma_f64 v[80:81], v[80:81], v[2:3], -v[0:1]
	ds_load_b128 v[0:3], v168
	ds_load_b128 v[8:11], v168 offset:704
	s_waitcnt lgkmcnt(1)
	v_fma_f64 v[22:23], v[22:23], -0.5, v[2:3]
	v_add_f64 v[2:3], v[2:3], v[14:15]
	v_fma_f64 v[20:21], v[20:21], -0.5, v[0:1]
	v_add_f64 v[0:1], v[0:1], v[12:13]
	v_add_f64 v[14:15], v[14:15], -v[18:19]
	s_delay_alu instid0(VALU_DEP_4) | instskip(SKIP_1) | instid1(VALU_DEP_4)
	v_add_f64 v[2:3], v[2:3], v[18:19]
	v_add_f64 v[18:19], v[12:13], -v[16:17]
	v_add_f64 v[0:1], v[0:1], v[16:17]
	s_delay_alu instid0(VALU_DEP_4) | instskip(SKIP_1) | instid1(VALU_DEP_4)
	v_fma_f64 v[12:13], v[14:15], s[2:3], v[20:21]
	v_fma_f64 v[16:17], v[14:15], s[10:11], v[20:21]
	;; [unrolled: 1-line block ×4, first 2 shown]
	ds_load_b128 v[20:23], v168 offset:1408
	ds_load_b128 v[24:27], v168 offset:2112
	ds_load_b128 v[28:31], v168 offset:2816
	ds_load_b128 v[32:35], v168 offset:3520
	s_waitcnt lgkmcnt(0)
	s_barrier
	buffer_gl0_inv
	scratch_load_b32 v82, off, off offset:588 ; 4-byte Folded Reload
	s_waitcnt vmcnt(0)
	ds_store_b128 v82, v[0:3]
	ds_store_b128 v82, v[12:15] offset:64
	ds_store_b128 v82, v[16:19] offset:128
	v_add_f64 v[0:1], v[36:37], v[60:61]
	v_add_f64 v[16:17], v[36:37], -v[60:61]
	s_delay_alu instid0(VALU_DEP_2) | instskip(SKIP_2) | instid1(VALU_DEP_2)
	v_fma_f64 v[12:13], v[0:1], -0.5, v[8:9]
	v_add_f64 v[0:1], v[38:39], v[62:63]
	v_add_f64 v[8:9], v[8:9], v[36:37]
	v_fma_f64 v[14:15], v[0:1], -0.5, v[10:11]
	v_add_f64 v[0:1], v[10:11], v[38:39]
	v_add_f64 v[10:11], v[38:39], -v[62:63]
	s_delay_alu instid0(VALU_DEP_2) | instskip(SKIP_1) | instid1(VALU_DEP_3)
	v_add_f64 v[2:3], v[0:1], v[62:63]
	v_add_f64 v[0:1], v[8:9], v[60:61]
	v_fma_f64 v[8:9], v[10:11], s[2:3], v[12:13]
	v_fma_f64 v[12:13], v[10:11], s[10:11], v[12:13]
	v_fma_f64 v[10:11], v[16:17], s[10:11], v[14:15]
	v_fma_f64 v[14:15], v[16:17], s[2:3], v[14:15]
	scratch_load_b32 v16, off, off offset:584 ; 4-byte Folded Reload
	s_waitcnt vmcnt(0)
	ds_store_b128 v16, v[0:3]
	ds_store_b128 v16, v[8:11] offset:64
	ds_store_b128 v16, v[12:15] offset:128
	v_add_f64 v[0:1], v[40:41], v[64:65]
	v_add_f64 v[8:9], v[20:21], v[40:41]
	v_add_f64 v[12:13], v[42:43], -v[66:67]
	v_add_f64 v[16:17], v[40:41], -v[64:65]
	s_delay_alu instid0(VALU_DEP_4) | instskip(SKIP_1) | instid1(VALU_DEP_1)
	v_fma_f64 v[10:11], v[0:1], -0.5, v[20:21]
	v_add_f64 v[0:1], v[42:43], v[66:67]
	v_fma_f64 v[14:15], v[0:1], -0.5, v[22:23]
	v_add_f64 v[0:1], v[22:23], v[42:43]
	s_delay_alu instid0(VALU_DEP_1)
	v_add_f64 v[2:3], v[0:1], v[66:67]
	v_add_f64 v[0:1], v[8:9], v[64:65]
	v_fma_f64 v[8:9], v[12:13], s[2:3], v[10:11]
	v_fma_f64 v[12:13], v[12:13], s[10:11], v[10:11]
	v_fma_f64 v[10:11], v[16:17], s[10:11], v[14:15]
	v_fma_f64 v[14:15], v[16:17], s[2:3], v[14:15]
	scratch_load_b32 v16, off, off offset:580 ; 4-byte Folded Reload
	s_waitcnt vmcnt(0)
	ds_store_b128 v16, v[0:3]
	ds_store_b128 v16, v[8:11] offset:64
	ds_store_b128 v16, v[12:15] offset:128
	v_add_f64 v[0:1], v[44:45], v[68:69]
	v_add_f64 v[8:9], v[24:25], v[44:45]
	v_add_f64 v[12:13], v[46:47], -v[70:71]
	v_add_f64 v[16:17], v[44:45], -v[68:69]
	s_delay_alu instid0(VALU_DEP_4) | instskip(SKIP_1) | instid1(VALU_DEP_1)
	v_fma_f64 v[10:11], v[0:1], -0.5, v[24:25]
	v_add_f64 v[0:1], v[46:47], v[70:71]
	v_fma_f64 v[14:15], v[0:1], -0.5, v[26:27]
	v_add_f64 v[0:1], v[26:27], v[46:47]
	s_delay_alu instid0(VALU_DEP_1)
	;; [unrolled: 21-line block ×4, first 2 shown]
	v_add_f64 v[2:3], v[0:1], v[78:79]
	v_add_f64 v[0:1], v[8:9], v[76:77]
	v_fma_f64 v[8:9], v[12:13], s[2:3], v[10:11]
	v_fma_f64 v[12:13], v[12:13], s[10:11], v[10:11]
	;; [unrolled: 1-line block ×4, first 2 shown]
	scratch_load_b32 v16, off, off offset:568 ; 4-byte Folded Reload
	s_waitcnt vmcnt(0)
	ds_store_b128 v16, v[0:3]
	ds_store_b128 v16, v[8:11] offset:64
	ds_store_b128 v16, v[12:15] offset:128
	v_add_f64 v[0:1], v[56:57], v[84:85]
	v_add_f64 v[12:13], v[56:57], -v[84:85]
	s_delay_alu instid0(VALU_DEP_2) | instskip(SKIP_2) | instid1(VALU_DEP_2)
	v_fma_f64 v[8:9], v[0:1], -0.5, v[4:5]
	v_add_f64 v[0:1], v[58:59], v[80:81]
	v_add_f64 v[4:5], v[4:5], v[56:57]
	v_fma_f64 v[10:11], v[0:1], -0.5, v[6:7]
	v_add_f64 v[0:1], v[6:7], v[58:59]
	v_add_f64 v[6:7], v[58:59], -v[80:81]
	s_delay_alu instid0(VALU_DEP_2) | instskip(SKIP_1) | instid1(VALU_DEP_3)
	v_add_f64 v[2:3], v[0:1], v[80:81]
	v_add_f64 v[0:1], v[4:5], v[84:85]
	v_fma_f64 v[4:5], v[6:7], s[2:3], v[8:9]
	v_fma_f64 v[8:9], v[6:7], s[10:11], v[8:9]
	;; [unrolled: 1-line block ×4, first 2 shown]
	scratch_load_b32 v12, off, off offset:564 ; 4-byte Folded Reload
	s_mov_b32 s10, 0x37c3f68c
	s_mov_b32 s11, 0xbfdc38aa
	;; [unrolled: 1-line block ×4, first 2 shown]
	s_waitcnt vmcnt(0)
	ds_store_b128 v12, v[0:3]
	ds_store_b128 v12, v[4:7] offset:64
	ds_store_b128 v12, v[8:11] offset:128
	s_waitcnt lgkmcnt(0)
	s_barrier
	buffer_gl0_inv
	ds_load_b128 v[0:3], v168 offset:2112
	ds_load_b128 v[4:7], v168 offset:1408
	scratch_load_b128 v[10:13], off, off offset:360 ; 16-byte Folded Reload
	s_waitcnt vmcnt(0) lgkmcnt(1)
	v_mul_f64 v[8:9], v[12:13], v[2:3]
	s_delay_alu instid0(VALU_DEP_1) | instskip(SKIP_1) | instid1(VALU_DEP_1)
	v_fma_f64 v[24:25], v[10:11], v[0:1], v[8:9]
	v_mul_f64 v[0:1], v[12:13], v[0:1]
	v_fma_f64 v[26:27], v[10:11], v[2:3], -v[0:1]
	ds_load_b128 v[0:3], v168 offset:4224
	ds_load_b128 v[8:11], v168 offset:4928
	scratch_load_b128 v[14:17], off, off offset:392 ; 16-byte Folded Reload
	s_waitcnt vmcnt(0) lgkmcnt(1)
	v_mul_f64 v[12:13], v[16:17], v[2:3]
	s_delay_alu instid0(VALU_DEP_1) | instskip(SKIP_1) | instid1(VALU_DEP_1)
	v_fma_f64 v[28:29], v[14:15], v[0:1], v[12:13]
	v_mul_f64 v[0:1], v[16:17], v[0:1]
	v_fma_f64 v[30:31], v[14:15], v[2:3], -v[0:1]
	;; [unrolled: 9-line block ×3, first 2 shown]
	ds_load_b128 v[0:3], v168 offset:12672
	ds_load_b128 v[16:19], v168 offset:13376
	scratch_load_b128 v[38:41], off, off offset:376 ; 16-byte Folded Reload
	v_add_f64 v[86:87], v[30:31], v[34:35]
	s_waitcnt vmcnt(0) lgkmcnt(1)
	v_mul_f64 v[20:21], v[40:41], v[2:3]
	s_delay_alu instid0(VALU_DEP_1) | instskip(SKIP_1) | instid1(VALU_DEP_1)
	v_fma_f64 v[36:37], v[38:39], v[0:1], v[20:21]
	v_mul_f64 v[0:1], v[40:41], v[0:1]
	v_fma_f64 v[38:39], v[38:39], v[2:3], -v[0:1]
	ds_load_b128 v[0:3], v168 offset:2816
	ds_load_b128 v[20:23], v168 offset:3520
	s_clause 0x1
	scratch_load_b128 v[42:45], off, off offset:608
	scratch_load_b128 v[46:49], off, off offset:540
	s_waitcnt vmcnt(1) lgkmcnt(1)
	v_mul_f64 v[40:41], v[44:45], v[2:3]
	s_delay_alu instid0(VALU_DEP_1) | instskip(SKIP_1) | instid1(VALU_DEP_1)
	v_fma_f64 v[40:41], v[42:43], v[0:1], v[40:41]
	v_mul_f64 v[0:1], v[44:45], v[0:1]
	v_fma_f64 v[42:43], v[42:43], v[2:3], -v[0:1]
	s_waitcnt vmcnt(0)
	v_mul_f64 v[0:1], v[48:49], v[10:11]
	s_delay_alu instid0(VALU_DEP_1) | instskip(SKIP_1) | instid1(VALU_DEP_1)
	v_fma_f64 v[44:45], v[46:47], v[8:9], v[0:1]
	v_mul_f64 v[0:1], v[48:49], v[8:9]
	v_fma_f64 v[46:47], v[46:47], v[10:11], -v[0:1]
	scratch_load_b128 v[8:11], off, off offset:624 ; 16-byte Folded Reload
	s_waitcnt vmcnt(0)
	v_mul_f64 v[0:1], v[10:11], v[18:19]
	s_delay_alu instid0(VALU_DEP_1) | instskip(SKIP_1) | instid1(VALU_DEP_2)
	v_fma_f64 v[48:49], v[8:9], v[16:17], v[0:1]
	v_mul_f64 v[0:1], v[10:11], v[16:17]
	v_add_f64 v[100:101], v[40:41], v[48:49]
	s_delay_alu instid0(VALU_DEP_2)
	v_fma_f64 v[50:51], v[8:9], v[18:19], -v[0:1]
	ds_load_b128 v[0:3], v168 offset:11264
	ds_load_b128 v[8:11], v168 offset:11968
	scratch_load_b128 v[54:57], off, off offset:592 ; 16-byte Folded Reload
	v_add_f64 v[116:117], v[42:43], v[50:51]
	v_add_f64 v[42:43], v[42:43], -v[50:51]
	s_waitcnt vmcnt(0) lgkmcnt(1)
	v_mul_f64 v[16:17], v[56:57], v[2:3]
	s_delay_alu instid0(VALU_DEP_1) | instskip(SKIP_1) | instid1(VALU_DEP_2)
	v_fma_f64 v[52:53], v[54:55], v[0:1], v[16:17]
	v_mul_f64 v[0:1], v[56:57], v[0:1]
	v_add_f64 v[102:103], v[44:45], v[52:53]
	s_delay_alu instid0(VALU_DEP_2) | instskip(SKIP_1) | instid1(VALU_DEP_3)
	v_fma_f64 v[54:55], v[54:55], v[2:3], -v[0:1]
	v_mul_f64 v[0:1], v[202:203], v[22:23]
	v_add_f64 v[110:111], v[102:103], v[100:101]
	s_delay_alu instid0(VALU_DEP_3) | instskip(NEXT) | instid1(VALU_DEP_3)
	v_add_f64 v[118:119], v[46:47], v[54:55]
	v_fma_f64 v[56:57], v[200:201], v[20:21], v[0:1]
	v_mul_f64 v[0:1], v[202:203], v[20:21]
	s_delay_alu instid0(VALU_DEP_3) | instskip(NEXT) | instid1(VALU_DEP_2)
	v_add_f64 v[112:113], v[118:119], v[116:117]
	v_fma_f64 v[58:59], v[200:201], v[22:23], -v[0:1]
	ds_load_b128 v[0:3], v168 offset:5632
	ds_load_b128 v[16:19], v168 offset:6336
	s_waitcnt lgkmcnt(1)
	v_mul_f64 v[20:21], v[190:191], v[2:3]
	s_delay_alu instid0(VALU_DEP_1) | instskip(SKIP_1) | instid1(VALU_DEP_1)
	v_fma_f64 v[60:61], v[188:189], v[0:1], v[20:21]
	v_mul_f64 v[0:1], v[190:191], v[0:1]
	v_fma_f64 v[62:63], v[188:189], v[2:3], -v[0:1]
	ds_load_b128 v[0:3], v168 offset:14080
	s_waitcnt lgkmcnt(0)
	v_mul_f64 v[20:21], v[198:199], v[2:3]
	s_delay_alu instid0(VALU_DEP_1) | instskip(SKIP_1) | instid1(VALU_DEP_2)
	v_fma_f64 v[64:65], v[196:197], v[0:1], v[20:21]
	v_mul_f64 v[0:1], v[198:199], v[0:1]
	v_add_f64 v[124:125], v[56:57], v[64:65]
	s_delay_alu instid0(VALU_DEP_2) | instskip(SKIP_1) | instid1(VALU_DEP_2)
	v_fma_f64 v[66:67], v[196:197], v[2:3], -v[0:1]
	v_mul_f64 v[0:1], v[194:195], v[10:11]
	v_add_f64 v[132:133], v[58:59], v[66:67]
	s_delay_alu instid0(VALU_DEP_2) | instskip(SKIP_1) | instid1(VALU_DEP_2)
	v_fma_f64 v[68:69], v[192:193], v[8:9], v[0:1]
	v_mul_f64 v[0:1], v[194:195], v[8:9]
	v_add_f64 v[126:127], v[60:61], v[68:69]
	s_delay_alu instid0(VALU_DEP_2) | instskip(SKIP_4) | instid1(VALU_DEP_1)
	v_fma_f64 v[70:71], v[192:193], v[10:11], -v[0:1]
	scratch_load_b128 v[8:11], off, off offset:524 ; 16-byte Folded Reload
	v_add_f64 v[134:135], v[62:63], v[70:71]
	s_waitcnt vmcnt(0)
	v_mul_f64 v[0:1], v[10:11], v[18:19]
	v_fma_f64 v[20:21], v[8:9], v[16:17], v[0:1]
	v_mul_f64 v[0:1], v[10:11], v[16:17]
	s_delay_alu instid0(VALU_DEP_1)
	v_fma_f64 v[22:23], v[8:9], v[18:19], -v[0:1]
	ds_load_b128 v[0:3], v168 offset:8448
	ds_load_b128 v[8:11], v168 offset:9152
	scratch_load_b128 v[74:77], off, off offset:508 ; 16-byte Folded Reload
	s_waitcnt vmcnt(0) lgkmcnt(1)
	v_mul_f64 v[16:17], v[76:77], v[2:3]
	s_delay_alu instid0(VALU_DEP_1) | instskip(SKIP_1) | instid1(VALU_DEP_1)
	v_fma_f64 v[72:73], v[74:75], v[0:1], v[16:17]
	v_mul_f64 v[0:1], v[76:77], v[0:1]
	v_fma_f64 v[74:75], v[74:75], v[2:3], -v[0:1]
	ds_load_b128 v[0:3], v168 offset:7040
	ds_load_b128 v[16:19], v168 offset:7744
	s_clause 0x1
	scratch_load_b128 v[78:81], off, off offset:656
	scratch_load_b128 v[82:85], off, off offset:640
	v_add_f64 v[96:97], v[22:23], v[74:75]
	v_add_f64 v[22:23], v[74:75], -v[22:23]
	s_waitcnt vmcnt(1) lgkmcnt(1)
	v_mul_f64 v[76:77], v[80:81], v[2:3]
	s_delay_alu instid0(VALU_DEP_1) | instskip(SKIP_1) | instid1(VALU_DEP_1)
	v_fma_f64 v[76:77], v[78:79], v[0:1], v[76:77]
	v_mul_f64 v[0:1], v[80:81], v[0:1]
	v_fma_f64 v[78:79], v[78:79], v[2:3], -v[0:1]
	s_waitcnt vmcnt(0)
	v_mul_f64 v[0:1], v[84:85], v[10:11]
	s_delay_alu instid0(VALU_DEP_1) | instskip(SKIP_3) | instid1(VALU_DEP_4)
	v_fma_f64 v[80:81], v[82:83], v[8:9], v[0:1]
	v_mul_f64 v[0:1], v[84:85], v[8:9]
	v_add_f64 v[84:85], v[26:27], v[38:39]
	v_add_f64 v[26:27], v[26:27], -v[38:39]
	v_add_f64 v[108:109], v[76:77], v[80:81]
	s_delay_alu instid0(VALU_DEP_4) | instskip(SKIP_3) | instid1(VALU_DEP_1)
	v_fma_f64 v[82:83], v[82:83], v[10:11], -v[0:1]
	scratch_load_b128 v[8:11], off, off offset:688 ; 16-byte Folded Reload
	v_add_f64 v[110:111], v[108:109], v[110:111]
	v_add_f64 v[120:121], v[78:79], v[82:83]
	;; [unrolled: 1-line block ×4, first 2 shown]
	v_add_f64 v[50:51], v[120:121], -v[118:119]
	s_waitcnt vmcnt(0) lgkmcnt(0)
	v_mul_f64 v[0:1], v[10:11], v[18:19]
	s_delay_alu instid0(VALU_DEP_1) | instskip(SKIP_3) | instid1(VALU_DEP_3)
	v_fma_f64 v[88:89], v[8:9], v[16:17], v[0:1]
	v_mul_f64 v[0:1], v[10:11], v[16:17]
	v_add_f64 v[16:17], v[24:25], v[36:37]
	v_add_f64 v[24:25], v[24:25], -v[36:37]
	v_fma_f64 v[90:91], v[8:9], v[18:19], -v[0:1]
	scratch_load_b128 v[8:11], off, off offset:672 ; 16-byte Folded Reload
	v_add_f64 v[18:19], v[20:21], v[72:73]
	v_add_f64 v[20:21], v[72:73], -v[20:21]
	s_waitcnt vmcnt(0)
	v_mul_f64 v[0:1], v[10:11], v[14:15]
	s_delay_alu instid0(VALU_DEP_1) | instskip(SKIP_2) | instid1(VALU_DEP_3)
	v_fma_f64 v[92:93], v[8:9], v[12:13], v[0:1]
	v_mul_f64 v[0:1], v[10:11], v[12:13]
	v_add_f64 v[12:13], v[28:29], v[32:33]
	v_add_f64 v[128:129], v[88:89], v[92:93]
	s_delay_alu instid0(VALU_DEP_3) | instskip(NEXT) | instid1(VALU_DEP_3)
	v_fma_f64 v[94:95], v[8:9], v[14:15], -v[0:1]
	v_add_f64 v[0:1], v[12:13], v[16:17]
	s_delay_alu instid0(VALU_DEP_3) | instskip(NEXT) | instid1(VALU_DEP_3)
	v_add_f64 v[130:131], v[128:129], v[112:113]
	v_add_f64 v[136:137], v[90:91], v[94:95]
	;; [unrolled: 1-line block ×3, first 2 shown]
	s_delay_alu instid0(VALU_DEP_4) | instskip(SKIP_1) | instid1(VALU_DEP_3)
	v_add_f64 v[14:15], v[18:19], v[0:1]
	v_add_f64 v[0:1], v[86:87], v[84:85]
	;; [unrolled: 1-line block ×4, first 2 shown]
	v_add_f64 v[4:5], v[28:29], -v[32:33]
	v_add_f64 v[28:29], v[12:13], -v[16:17]
	v_add_f64 v[98:99], v[96:97], v[0:1]
	ds_load_b128 v[0:3], v168
	ds_load_b128 v[8:11], v168 offset:704
	v_add_f64 v[32:33], v[86:87], -v[84:85]
	v_add_f64 v[16:17], v[16:17], -v[18:19]
	s_waitcnt lgkmcnt(0)
	s_barrier
	buffer_gl0_inv
	v_add_f64 v[0:1], v[0:1], v[14:15]
	v_add_f64 v[8:9], v[8:9], v[110:111]
	v_add_f64 v[10:11], v[10:11], v[122:123]
	v_add_f64 v[114:115], v[6:7], v[138:139]
	v_add_f64 v[6:7], v[30:31], -v[34:35]
	v_add_f64 v[36:37], v[20:21], -v[4:5]
	;; [unrolled: 1-line block ×3, first 2 shown]
	v_add_f64 v[12:13], v[20:21], v[4:5]
	v_add_f64 v[38:39], v[4:5], -v[24:25]
	v_add_f64 v[34:35], v[96:97], -v[86:87]
	;; [unrolled: 1-line block ×3, first 2 shown]
	v_add_f64 v[2:3], v[2:3], v[98:99]
	v_fma_f64 v[142:143], v[14:15], s[14:15], v[0:1]
	v_fma_f64 v[84:85], v[110:111], s[14:15], v[8:9]
	v_add_f64 v[4:5], v[22:23], -v[6:7]
	v_mul_f64 v[36:37], v[36:37], s[18:19]
	v_add_f64 v[72:73], v[22:23], v[6:7]
	v_add_f64 v[74:75], v[6:7], -v[26:27]
	v_add_f64 v[140:141], v[12:13], v[24:25]
	v_add_f64 v[24:25], v[24:25], -v[20:21]
	v_mul_f64 v[20:21], v[38:39], s[12:13]
	v_fma_f64 v[98:99], v[98:99], s[14:15], v[2:3]
	v_mul_f64 v[6:7], v[34:35], s[2:3]
	v_mul_f64 v[86:87], v[4:5], s[18:19]
	v_fma_f64 v[12:13], v[38:39], s[12:13], -v[36:37]
	v_add_f64 v[72:73], v[72:73], v[26:27]
	v_add_f64 v[26:27], v[26:27], -v[22:23]
	v_mul_f64 v[22:23], v[74:75], s[12:13]
	v_mul_f64 v[4:5], v[30:31], s[2:3]
	;; [unrolled: 1-line block ×3, first 2 shown]
	v_fma_f64 v[16:17], v[24:25], s[26:27], -v[20:21]
	v_fma_f64 v[6:7], v[32:33], s[16:17], -v[6:7]
	v_fma_f64 v[24:25], v[24:25], s[20:21], v[36:37]
	v_add_f64 v[36:37], v[80:81], -v[76:77]
	v_fma_f64 v[14:15], v[140:141], s[10:11], v[12:13]
	v_fma_f64 v[12:13], v[74:75], s[12:13], -v[86:87]
	v_mul_f64 v[74:75], v[18:19], s[22:23]
	v_fma_f64 v[18:19], v[26:27], s[26:27], -v[22:23]
	v_fma_f64 v[4:5], v[28:29], s[16:17], -v[4:5]
	;; [unrolled: 1-line block ×3, first 2 shown]
	v_fma_f64 v[28:29], v[140:141], s[10:11], v[16:17]
	v_fma_f64 v[26:27], v[26:27], s[20:21], v[86:87]
	;; [unrolled: 1-line block ×3, first 2 shown]
	v_add_f64 v[146:147], v[6:7], v[98:99]
	v_fma_f64 v[12:13], v[72:73], s[10:11], v[12:13]
	v_fma_f64 v[22:23], v[32:33], s[24:25], -v[74:75]
	v_fma_f64 v[32:33], v[72:73], s[10:11], v[18:19]
	v_add_f64 v[144:145], v[4:5], v[142:143]
	v_add_f64 v[20:21], v[20:21], v[142:143]
	;; [unrolled: 1-line block ×3, first 2 shown]
	v_add_f64 v[14:15], v[146:147], -v[14:15]
	v_add_f64 v[22:23], v[22:23], v[98:99]
	v_add_f64 v[4:5], v[144:145], -v[12:13]
	v_add_f64 v[16:17], v[32:33], v[20:21]
	v_add_f64 v[20:21], v[20:21], -v[32:33]
	v_fma_f64 v[32:33], v[140:141], s[10:11], v[24:25]
	v_add_f64 v[12:13], v[12:13], v[144:145]
	v_add_f64 v[18:19], v[22:23], -v[28:29]
	v_add_f64 v[22:23], v[28:29], v[22:23]
	v_fma_f64 v[28:29], v[30:31], s[2:3], v[38:39]
	v_fma_f64 v[30:31], v[34:35], s[2:3], v[74:75]
	;; [unrolled: 1-line block ×3, first 2 shown]
	v_add_f64 v[38:39], v[40:41], -v[48:49]
	v_add_f64 v[40:41], v[82:83], -v[78:79]
	;; [unrolled: 1-line block ×3, first 2 shown]
	v_add_f64 v[28:29], v[28:29], v[142:143]
	v_add_f64 v[30:31], v[30:31], v[98:99]
	s_delay_alu instid0(VALU_DEP_2) | instskip(NEXT) | instid1(VALU_DEP_2)
	v_add_f64 v[24:25], v[34:35], v[28:29]
	v_add_f64 v[26:27], v[30:31], -v[32:33]
	v_add_f64 v[30:31], v[32:33], v[30:31]
	v_add_f64 v[32:33], v[44:45], -v[52:53]
	v_add_f64 v[28:29], v[28:29], -v[34:35]
	v_add_f64 v[34:35], v[46:47], -v[54:55]
	v_add_f64 v[46:47], v[108:109], -v[102:103]
	v_add_f64 v[44:45], v[102:103], -v[100:101]
	ds_store_b128 v185, v[0:3]
	ds_store_b128 v185, v[24:27] offset:192
	ds_store_b128 v185, v[16:19] offset:384
	;; [unrolled: 1-line block ×6, first 2 shown]
	scratch_load_b32 v0, off, off offset:560 ; 4-byte Folded Reload
	v_add_f64 v[54:55], v[36:37], -v[32:33]
	v_add_f64 v[52:53], v[36:37], v[32:33]
	v_add_f64 v[72:73], v[32:33], -v[38:39]
	v_add_f64 v[32:33], v[40:41], -v[34:35]
	v_add_f64 v[74:75], v[40:41], v[34:35]
	v_add_f64 v[76:77], v[34:35], -v[42:43]
	v_mul_f64 v[34:35], v[50:51], s[2:3]
	v_add_f64 v[40:41], v[42:43], -v[40:41]
	v_mul_f64 v[54:55], v[54:55], s[18:19]
	v_add_f64 v[52:53], v[52:53], v[38:39]
	v_mul_f64 v[78:79], v[32:33], s[18:19]
	v_mul_f64 v[32:33], v[46:47], s[2:3]
	v_add_f64 v[74:75], v[74:75], v[42:43]
	v_fma_f64 v[34:35], v[48:49], s[16:17], -v[34:35]
	v_fma_f64 v[80:81], v[72:73], s[12:13], -v[54:55]
	s_delay_alu instid0(VALU_DEP_4) | instskip(NEXT) | instid1(VALU_DEP_3)
	v_fma_f64 v[32:33], v[44:45], s[16:17], -v[32:33]
	v_add_f64 v[98:99], v[34:35], v[86:87]
	s_delay_alu instid0(VALU_DEP_3) | instskip(SKIP_1) | instid1(VALU_DEP_4)
	v_fma_f64 v[82:83], v[52:53], s[10:11], v[80:81]
	v_fma_f64 v[80:81], v[76:77], s[12:13], -v[78:79]
	v_add_f64 v[96:97], v[32:33], v[84:85]
	s_delay_alu instid0(VALU_DEP_3) | instskip(NEXT) | instid1(VALU_DEP_3)
	v_add_f64 v[34:35], v[82:83], v[98:99]
	v_fma_f64 v[80:81], v[74:75], s[10:11], v[80:81]
	v_add_f64 v[82:83], v[98:99], -v[82:83]
	v_add_f64 v[98:99], v[116:117], -v[120:121]
	s_delay_alu instid0(VALU_DEP_3)
	v_add_f64 v[32:33], v[96:97], -v[80:81]
	v_add_f64 v[80:81], v[80:81], v[96:97]
	v_add_f64 v[96:97], v[100:101], -v[108:109]
	v_add_f64 v[100:101], v[38:39], -v[36:37]
	v_mul_f64 v[38:39], v[76:77], s[12:13]
	v_mul_f64 v[36:37], v[72:73], s[12:13]
	;; [unrolled: 1-line block ×4, first 2 shown]
	s_delay_alu instid0(VALU_DEP_4) | instskip(NEXT) | instid1(VALU_DEP_4)
	v_fma_f64 v[38:39], v[40:41], s[26:27], -v[38:39]
	v_fma_f64 v[36:37], v[100:101], s[26:27], -v[36:37]
	s_delay_alu instid0(VALU_DEP_4)
	v_fma_f64 v[48:49], v[48:49], s[24:25], -v[72:73]
	v_fma_f64 v[40:41], v[40:41], s[20:21], v[78:79]
	v_fma_f64 v[78:79], v[138:139], s[14:15], v[114:115]
	v_fma_f64 v[44:45], v[44:45], s[24:25], -v[42:43]
	v_fma_f64 v[42:43], v[46:47], s[2:3], v[42:43]
	v_fma_f64 v[96:97], v[74:75], s[10:11], v[38:39]
	;; [unrolled: 1-line block ×3, first 2 shown]
	v_add_f64 v[48:49], v[48:49], v[86:87]
	v_fma_f64 v[46:47], v[50:51], s[2:3], v[72:73]
	v_add_f64 v[44:45], v[44:45], v[84:85]
	v_add_f64 v[50:51], v[42:43], v[84:85]
	s_delay_alu instid0(VALU_DEP_4)
	v_add_f64 v[38:39], v[48:49], -v[76:77]
	v_add_f64 v[118:119], v[76:77], v[48:49]
	v_fma_f64 v[48:49], v[74:75], s[10:11], v[40:41]
	v_add_f64 v[46:47], v[46:47], v[86:87]
	v_fma_f64 v[76:77], v[130:131], s[14:15], v[112:113]
	v_add_f64 v[36:37], v[96:97], v[44:45]
	v_add_f64 v[116:117], v[44:45], -v[96:97]
	v_fma_f64 v[44:45], v[100:101], s[20:21], v[54:55]
	v_add_f64 v[54:55], v[58:59], -v[66:67]
	v_add_f64 v[58:59], v[128:129], -v[126:127]
	v_add_f64 v[40:41], v[48:49], v[50:51]
	v_add_f64 v[84:85], v[50:51], -v[48:49]
	v_add_f64 v[50:51], v[62:63], -v[70:71]
	;; [unrolled: 1-line block ×5, first 2 shown]
	v_fma_f64 v[44:45], v[52:53], s[10:11], v[44:45]
	v_add_f64 v[52:53], v[94:95], -v[90:91]
	v_mul_f64 v[72:73], v[58:59], s[2:3]
	v_mul_f64 v[74:75], v[62:63], s[2:3]
	s_delay_alu instid0(VALU_DEP_4)
	v_add_f64 v[42:43], v[46:47], -v[44:45]
	v_add_f64 v[86:87], v[44:45], v[46:47]
	v_add_f64 v[44:45], v[60:61], -v[68:69]
	v_add_f64 v[46:47], v[92:93], -v[88:89]
	;; [unrolled: 1-line block ×4, first 2 shown]
	v_add_f64 v[70:71], v[52:53], v[50:51]
	v_add_f64 v[50:51], v[50:51], -v[54:55]
	v_fma_f64 v[72:73], v[56:57], s[16:17], -v[72:73]
	s_waitcnt vmcnt(0)
	ds_store_b128 v0, v[8:11]
	ds_store_b128 v0, v[40:43] offset:192
	ds_store_b128 v0, v[36:39] offset:384
	ds_store_b128 v0, v[32:35] offset:576
	ds_store_b128 v0, v[80:83] offset:768
	ds_store_b128 v0, v[116:119] offset:960
	ds_store_b128 v0, v[84:87] offset:1152
	scratch_load_b32 v0, off, off offset:556 ; 4-byte Folded Reload
	v_add_f64 v[66:67], v[44:45], -v[48:49]
	v_add_f64 v[64:65], v[46:47], -v[44:45]
	v_add_f64 v[44:45], v[46:47], v[44:45]
	v_mul_f64 v[68:69], v[68:69], s[18:19]
	v_add_f64 v[70:71], v[70:71], v[54:55]
	v_fma_f64 v[74:75], v[60:61], s[16:17], -v[74:75]
	v_add_f64 v[72:73], v[72:73], v[76:77]
	v_add_f64 v[46:47], v[48:49], -v[46:47]
	v_mul_f64 v[64:65], v[64:65], s[18:19]
	v_add_f64 v[44:45], v[44:45], v[48:49]
	v_fma_f64 v[90:91], v[50:51], s[12:13], -v[68:69]
	v_add_f64 v[48:49], v[54:55], -v[52:53]
	v_add_f64 v[74:75], v[74:75], v[78:79]
	v_mul_f64 v[52:53], v[66:67], s[12:13]
	v_mul_f64 v[50:51], v[50:51], s[12:13]
	v_fma_f64 v[88:89], v[66:67], s[12:13], -v[64:65]
	v_fma_f64 v[90:91], v[70:71], s[10:11], v[90:91]
	s_delay_alu instid0(VALU_DEP_4) | instskip(NEXT) | instid1(VALU_DEP_4)
	v_fma_f64 v[52:53], v[46:47], s[26:27], -v[52:53]
	v_fma_f64 v[50:51], v[48:49], s[26:27], -v[50:51]
	v_fma_f64 v[46:47], v[46:47], s[20:21], v[64:65]
	v_fma_f64 v[48:49], v[48:49], s[20:21], v[68:69]
	v_fma_f64 v[88:89], v[44:45], s[10:11], v[88:89]
	v_add_f64 v[148:149], v[72:73], -v[90:91]
	v_add_f64 v[152:153], v[90:91], v[72:73]
	v_add_f64 v[72:73], v[124:125], -v[128:129]
	v_fma_f64 v[52:53], v[44:45], s[10:11], v[52:53]
	v_fma_f64 v[50:51], v[70:71], s[10:11], v[50:51]
	;; [unrolled: 1-line block ×4, first 2 shown]
	v_add_f64 v[150:151], v[88:89], v[74:75]
	v_add_f64 v[154:155], v[74:75], -v[88:89]
	v_add_f64 v[74:75], v[132:133], -v[136:137]
	v_mul_f64 v[54:55], v[72:73], s[22:23]
	s_delay_alu instid0(VALU_DEP_2) | instskip(NEXT) | instid1(VALU_DEP_2)
	v_mul_f64 v[66:67], v[74:75], s[22:23]
	v_fma_f64 v[56:57], v[56:57], s[24:25], -v[54:55]
	s_delay_alu instid0(VALU_DEP_2) | instskip(NEXT) | instid1(VALU_DEP_2)
	v_fma_f64 v[60:61], v[60:61], s[24:25], -v[66:67]
	v_add_f64 v[56:57], v[56:57], v[76:77]
	s_delay_alu instid0(VALU_DEP_2) | instskip(NEXT) | instid1(VALU_DEP_2)
	v_add_f64 v[60:61], v[60:61], v[78:79]
	v_add_f64 v[160:161], v[50:51], v[56:57]
	v_add_f64 v[108:109], v[56:57], -v[50:51]
	v_fma_f64 v[50:51], v[58:59], s[2:3], v[54:55]
	s_delay_alu instid0(VALU_DEP_4) | instskip(SKIP_2) | instid1(VALU_DEP_4)
	v_add_f64 v[162:163], v[60:61], -v[52:53]
	v_add_f64 v[110:111], v[52:53], v[60:61]
	v_fma_f64 v[52:53], v[62:63], s[2:3], v[66:67]
	v_add_f64 v[48:49], v[50:51], v[76:77]
	s_delay_alu instid0(VALU_DEP_2) | instskip(NEXT) | instid1(VALU_DEP_2)
	v_add_f64 v[50:51], v[52:53], v[78:79]
	v_add_f64 v[156:157], v[46:47], v[48:49]
	v_add_f64 v[92:93], v[48:49], -v[46:47]
	s_delay_alu instid0(VALU_DEP_3)
	v_add_f64 v[158:159], v[50:51], -v[44:45]
	v_add_f64 v[94:95], v[44:45], v[50:51]
	s_waitcnt vmcnt(0)
	ds_store_b128 v0, v[112:115]
	ds_store_b128 v0, v[156:159] offset:192
	ds_store_b128 v0, v[160:163] offset:384
	;; [unrolled: 1-line block ×6, first 2 shown]
	s_waitcnt lgkmcnt(0)
	s_barrier
	buffer_gl0_inv
	ds_load_b128 v[0:3], v168
	ds_load_b128 v[36:39], v168 offset:1344
	ds_load_b128 v[32:35], v168 offset:2688
	;; [unrolled: 1-line block ×10, first 2 shown]
	s_and_saveexec_b32 s1, s0
	s_cbranch_execz .LBB0_27
; %bb.26:
	ds_load_b128 v[80:83], v168 offset:704
	ds_load_b128 v[116:119], v168 offset:2048
	;; [unrolled: 1-line block ×11, first 2 shown]
.LBB0_27:
	s_or_b32 exec_lo, exec_lo, s1
	s_waitcnt lgkmcnt(9)
	v_mul_f64 v[40:41], v[206:207], v[38:39]
	s_waitcnt lgkmcnt(3)
	v_mul_f64 v[44:45], v[242:243], v[10:11]
	v_mul_f64 v[48:49], v[210:211], v[164:165]
	s_mov_b32 s14, 0xf8bb580b
	s_mov_b32 s12, 0x8eee2c13
	;; [unrolled: 1-line block ×10, first 2 shown]
	v_mul_f64 v[50:51], v[222:223], v[4:5]
	s_mov_b32 s18, 0x8764f0ba
	s_mov_b32 s26, 0xd9c712b6
	;; [unrolled: 1-line block ×20, first 2 shown]
	s_delay_alu instid0(VALU_DEP_4) | instskip(SKIP_1) | instid1(VALU_DEP_1)
	v_fma_f64 v[40:41], v[204:205], v[36:37], v[40:41]
	v_mul_f64 v[36:37], v[206:207], v[36:37]
	v_fma_f64 v[42:43], v[204:205], v[38:39], -v[36:37]
	v_mul_f64 v[36:37], v[226:227], v[32:33]
	s_delay_alu instid0(VALU_DEP_2) | instskip(NEXT) | instid1(VALU_DEP_2)
	v_add_f64 v[98:99], v[2:3], v[42:43]
	v_fma_f64 v[36:37], v[224:225], v[34:35], -v[36:37]
	v_mul_f64 v[34:35], v[226:227], v[34:35]
	s_delay_alu instid0(VALU_DEP_1) | instskip(SKIP_2) | instid1(VALU_DEP_1)
	v_fma_f64 v[34:35], v[224:225], v[32:33], v[34:35]
	s_waitcnt lgkmcnt(0)
	v_mul_f64 v[32:33], v[214:215], v[28:29]
	v_fma_f64 v[32:33], v[212:213], v[30:31], -v[32:33]
	v_mul_f64 v[30:31], v[214:215], v[30:31]
	s_delay_alu instid0(VALU_DEP_2) | instskip(NEXT) | instid1(VALU_DEP_2)
	v_add_f64 v[46:47], v[42:43], -v[32:33]
	v_fma_f64 v[28:29], v[212:213], v[28:29], v[30:31]
	v_mul_f64 v[30:31], v[230:231], v[20:21]
	s_delay_alu instid0(VALU_DEP_3) | instskip(NEXT) | instid1(VALU_DEP_3)
	v_mul_f64 v[54:55], v[46:47], s[14:15]
	v_add_f64 v[52:53], v[40:41], v[28:29]
	s_delay_alu instid0(VALU_DEP_3) | instskip(SKIP_4) | instid1(VALU_DEP_4)
	v_fma_f64 v[30:31], v[228:229], v[22:23], -v[30:31]
	v_mul_f64 v[22:23], v[230:231], v[22:23]
	v_mul_f64 v[56:57], v[46:47], s[2:3]
	;; [unrolled: 1-line block ×3, first 2 shown]
	v_add_f64 v[74:75], v[40:41], -v[28:29]
	v_fma_f64 v[38:39], v[228:229], v[20:21], v[22:23]
	v_mul_f64 v[22:23], v[218:219], v[26:27]
	v_mul_f64 v[20:21], v[218:219], v[24:25]
	v_fma_f64 v[60:61], v[52:53], s[24:25], v[56:57]
	v_fma_f64 v[56:57], v[52:53], s[24:25], -v[56:57]
	v_fma_f64 v[62:63], v[52:53], s[22:23], v[58:59]
	v_fma_f64 v[58:59], v[52:53], s[22:23], -v[58:59]
	v_fma_f64 v[22:23], v[216:217], v[24:25], v[22:23]
	v_mul_f64 v[24:25], v[238:239], v[16:17]
	v_fma_f64 v[20:21], v[216:217], v[26:27], -v[20:21]
	v_mul_f64 v[26:27], v[234:235], v[12:13]
	v_add_f64 v[60:61], v[0:1], v[60:61]
	v_add_f64 v[120:121], v[34:35], v[22:23]
	v_fma_f64 v[24:25], v[236:237], v[18:19], -v[24:25]
	v_mul_f64 v[18:19], v[238:239], v[18:19]
	v_add_f64 v[102:103], v[36:37], -v[20:21]
	v_add_f64 v[124:125], v[36:37], v[20:21]
	v_add_f64 v[126:127], v[34:35], -v[22:23]
	v_add_f64 v[36:37], v[98:99], v[36:37]
	v_add_f64 v[130:131], v[30:31], -v[24:25]
	v_fma_f64 v[16:17], v[236:237], v[16:17], v[18:19]
	v_mul_f64 v[18:19], v[234:235], v[14:15]
	v_fma_f64 v[14:15], v[232:233], v[14:15], -v[26:27]
	v_mul_f64 v[26:27], v[210:211], v[166:167]
	v_mul_f64 v[122:123], v[102:103], s[12:13]
	v_mul_f64 v[128:129], v[124:125], s[26:27]
	v_add_f64 v[136:137], v[30:31], v[24:25]
	v_mul_f64 v[195:196], v[124:125], s[24:25]
	v_mul_f64 v[193:194], v[102:103], s[36:37]
	v_add_f64 v[30:31], v[36:37], v[30:31]
	v_mul_f64 v[134:135], v[130:131], s[2:3]
	v_add_f64 v[132:133], v[38:39], v[16:17]
	v_fma_f64 v[12:13], v[232:233], v[12:13], v[18:19]
	v_mul_f64 v[18:19], v[242:243], v[8:9]
	v_fma_f64 v[8:9], v[240:241], v[8:9], v[44:45]
	v_mul_f64 v[44:45], v[222:223], v[6:7]
	v_fma_f64 v[6:7], v[220:221], v[6:7], -v[50:51]
	v_fma_f64 v[50:51], v[52:53], s[18:19], -v[54:55]
	v_add_f64 v[138:139], v[38:39], -v[16:17]
	v_mul_f64 v[140:141], v[136:137], s[24:25]
	v_mul_f64 v[197:198], v[136:137], s[18:19]
	v_fma_f64 v[10:11], v[240:241], v[10:11], -v[18:19]
	v_fma_f64 v[18:19], v[208:209], v[164:165], v[26:27]
	v_fma_f64 v[26:27], v[208:209], v[166:167], -v[48:49]
	v_mul_f64 v[48:49], v[46:47], s[12:13]
	v_mul_f64 v[46:47], v[46:47], s[16:17]
	v_fma_f64 v[4:5], v[220:221], v[4:5], v[44:45]
	v_fma_f64 v[44:45], v[52:53], s[18:19], v[54:55]
	v_add_f64 v[100:101], v[0:1], v[50:51]
	v_add_f64 v[144:145], v[12:13], v[8:9]
	v_add_f64 v[166:167], v[12:13], -v[8:9]
	v_mul_f64 v[50:51], v[130:131], s[30:31]
	v_add_f64 v[142:143], v[14:15], -v[10:11]
	v_add_f64 v[164:165], v[14:15], v[10:11]
	v_add_f64 v[171:172], v[26:27], -v[6:7]
	v_fma_f64 v[54:55], v[52:53], s[26:27], v[48:49]
	v_fma_f64 v[48:49], v[52:53], s[26:27], -v[48:49]
	v_fma_f64 v[64:65], v[52:53], s[20:21], v[46:47]
	v_fma_f64 v[46:47], v[52:53], s[20:21], -v[46:47]
	v_add_f64 v[52:53], v[42:43], v[32:33]
	v_add_f64 v[173:174], v[18:19], v[4:5]
	;; [unrolled: 1-line block ×3, first 2 shown]
	v_add_f64 v[179:180], v[18:19], -v[4:5]
	v_add_f64 v[14:15], v[30:31], v[14:15]
	v_mul_f64 v[146:147], v[142:143], s[10:11]
	v_mul_f64 v[169:170], v[164:165], s[22:23]
	;; [unrolled: 1-line block ×4, first 2 shown]
	v_add_f64 v[48:49], v[0:1], v[48:49]
	v_mul_f64 v[201:202], v[164:165], s[20:21]
	v_mul_f64 v[203:204], v[171:172], s[28:29]
	;; [unrolled: 1-line block ×10, first 2 shown]
	v_add_f64 v[14:15], v[14:15], v[26:27]
	v_fma_f64 v[26:27], v[120:121], s[26:27], -v[122:123]
	v_fma_f64 v[96:97], v[74:75], s[34:35], v[66:67]
	v_fma_f64 v[76:77], v[74:75], s[28:29], v[68:69]
	;; [unrolled: 1-line block ×10, first 2 shown]
	v_add_f64 v[74:75], v[0:1], v[40:41]
	v_add_f64 v[40:41], v[0:1], v[44:45]
	;; [unrolled: 1-line block ×4, first 2 shown]
	v_fma_f64 v[14:15], v[126:127], s[36:37], v[195:196]
	v_add_f64 v[26:27], v[26:27], v[100:101]
	v_add_f64 v[42:43], v[2:3], v[96:97]
	;; [unrolled: 1-line block ×11, first 2 shown]
	v_fma_f64 v[0:1], v[120:121], s[26:27], v[122:123]
	v_add_f64 v[68:69], v[2:3], v[68:69]
	v_add_f64 v[96:97], v[2:3], v[52:53]
	;; [unrolled: 1-line block ×5, first 2 shown]
	v_fma_f64 v[2:3], v[126:127], s[28:29], v[128:129]
	v_mul_f64 v[46:47], v[102:103], s[10:11]
	v_fma_f64 v[52:53], v[132:133], s[20:21], v[50:51]
	v_add_f64 v[34:35], v[74:75], v[34:35]
	v_add_f64 v[6:7], v[6:7], v[10:11]
	;; [unrolled: 1-line block ×3, first 2 shown]
	v_fma_f64 v[40:41], v[132:133], s[24:25], v[134:135]
	v_add_f64 v[14:15], v[14:15], v[72:73]
	v_add_f64 v[2:3], v[2:3], v[42:43]
	;; [unrolled: 1-line block ×3, first 2 shown]
	v_fma_f64 v[38:39], v[126:127], s[12:13], v[128:129]
	v_add_f64 v[6:7], v[6:7], v[24:25]
	v_fma_f64 v[24:25], v[173:174], s[20:21], -v[175:176]
	v_add_f64 v[0:1], v[40:41], v[0:1]
	v_fma_f64 v[40:41], v[138:139], s[36:37], v[140:141]
	v_add_f64 v[12:13], v[34:35], v[12:13]
	v_fma_f64 v[34:35], v[120:121], s[24:25], -v[193:194]
	s_delay_alu instid0(VALU_DEP_3) | instskip(SKIP_1) | instid1(VALU_DEP_4)
	v_add_f64 v[2:3], v[40:41], v[2:3]
	v_fma_f64 v[40:41], v[144:145], s[22:23], v[146:147]
	v_add_f64 v[12:13], v[12:13], v[18:19]
	s_delay_alu instid0(VALU_DEP_4) | instskip(NEXT) | instid1(VALU_DEP_3)
	v_add_f64 v[34:35], v[34:35], v[88:89]
	v_add_f64 v[0:1], v[40:41], v[0:1]
	v_fma_f64 v[40:41], v[166:167], s[38:39], v[169:170]
	s_delay_alu instid0(VALU_DEP_4) | instskip(NEXT) | instid1(VALU_DEP_2)
	v_add_f64 v[4:5], v[12:13], v[4:5]
	v_add_f64 v[2:3], v[40:41], v[2:3]
	v_fma_f64 v[40:41], v[173:174], s[20:21], v[175:176]
	s_delay_alu instid0(VALU_DEP_3) | instskip(SKIP_2) | instid1(VALU_DEP_4)
	v_add_f64 v[4:5], v[4:5], v[8:9]
	v_add_f64 v[8:9], v[38:39], v[66:67]
	v_fma_f64 v[38:39], v[144:145], s[22:23], -v[146:147]
	v_add_f64 v[0:1], v[40:41], v[0:1]
	v_fma_f64 v[40:41], v[179:180], s[30:31], v[181:182]
	v_add_f64 v[4:5], v[4:5], v[16:17]
	s_delay_alu instid0(VALU_DEP_2) | instskip(SKIP_2) | instid1(VALU_DEP_4)
	v_add_f64 v[2:3], v[40:41], v[2:3]
	v_fma_f64 v[40:41], v[120:121], s[22:23], v[46:47]
	v_fma_f64 v[46:47], v[120:121], s[22:23], -v[46:47]
	v_add_f64 v[22:23], v[4:5], v[22:23]
	s_delay_alu instid0(VALU_DEP_3) | instskip(SKIP_1) | instid1(VALU_DEP_4)
	v_add_f64 v[40:41], v[40:41], v[44:45]
	v_mul_f64 v[44:45], v[124:125], s[22:23]
	v_add_f64 v[46:47], v[46:47], v[48:49]
	v_fma_f64 v[48:49], v[132:133], s[20:21], -v[50:51]
	s_delay_alu instid0(VALU_DEP_4) | instskip(NEXT) | instid1(VALU_DEP_4)
	v_add_f64 v[40:41], v[52:53], v[40:41]
	v_fma_f64 v[42:43], v[126:127], s[38:39], v[44:45]
	v_mul_f64 v[52:53], v[136:137], s[20:21]
	v_fma_f64 v[44:45], v[126:127], s[10:11], v[44:45]
	v_add_f64 v[46:47], v[48:49], v[46:47]
	s_delay_alu instid0(VALU_DEP_4) | instskip(NEXT) | instid1(VALU_DEP_4)
	v_add_f64 v[42:43], v[42:43], v[54:55]
	v_fma_f64 v[54:55], v[138:139], s[16:17], v[52:53]
	s_delay_alu instid0(VALU_DEP_4)
	v_add_f64 v[44:45], v[44:45], v[68:69]
	v_fma_f64 v[48:49], v[138:139], s[30:31], v[52:53]
	v_mul_f64 v[68:69], v[102:103], s[30:31]
	v_mul_f64 v[102:103], v[102:103], s[34:35]
	v_add_f64 v[42:43], v[54:55], v[42:43]
	v_mul_f64 v[54:55], v[142:143], s[36:37]
	v_add_f64 v[44:45], v[48:49], v[44:45]
	v_fma_f64 v[30:31], v[120:121], s[20:21], -v[68:69]
	v_fma_f64 v[18:19], v[120:121], s[18:19], -v[102:103]
	s_delay_alu instid0(VALU_DEP_4) | instskip(SKIP_2) | instid1(VALU_DEP_4)
	v_fma_f64 v[183:184], v[144:145], s[24:25], v[54:55]
	v_fma_f64 v[48:49], v[144:145], s[24:25], -v[54:55]
	v_fma_f64 v[54:55], v[126:127], s[2:3], v[195:196]
	v_add_f64 v[18:19], v[18:19], v[90:91]
	v_add_f64 v[30:31], v[30:31], v[78:79]
	v_fma_f64 v[90:91], v[166:167], s[16:17], v[201:202]
	v_fma_f64 v[78:79], v[166:167], s[10:11], v[169:170]
	v_add_f64 v[40:41], v[183:184], v[40:41]
	v_mul_f64 v[183:184], v[164:165], s[24:25]
	v_add_f64 v[46:47], v[48:49], v[46:47]
	v_add_f64 v[54:55], v[54:55], v[62:63]
	v_mul_f64 v[62:63], v[130:131], s[14:15]
	s_delay_alu instid0(VALU_DEP_4) | instskip(SKIP_2) | instid1(VALU_DEP_3)
	v_fma_f64 v[185:186], v[166:167], s[2:3], v[183:184]
	v_fma_f64 v[48:49], v[166:167], s[36:37], v[183:184]
	v_mul_f64 v[183:184], v[136:137], s[26:27]
	v_add_f64 v[42:43], v[185:186], v[42:43]
	v_mul_f64 v[185:186], v[171:172], s[34:35]
	s_delay_alu instid0(VALU_DEP_4) | instskip(NEXT) | instid1(VALU_DEP_4)
	v_add_f64 v[48:49], v[48:49], v[44:45]
	v_fma_f64 v[98:99], v[138:139], s[28:29], v[183:184]
	s_delay_alu instid0(VALU_DEP_3) | instskip(SKIP_2) | instid1(VALU_DEP_3)
	v_fma_f64 v[187:188], v[173:174], s[18:19], v[185:186]
	v_fma_f64 v[44:45], v[173:174], s[18:19], -v[185:186]
	v_mul_f64 v[185:186], v[142:143], s[14:15]
	v_add_f64 v[40:41], v[187:188], v[40:41]
	v_mul_f64 v[187:188], v[177:178], s[18:19]
	s_delay_alu instid0(VALU_DEP_4) | instskip(NEXT) | instid1(VALU_DEP_4)
	v_add_f64 v[44:45], v[44:45], v[46:47]
	v_fma_f64 v[66:67], v[144:145], s[18:19], -v[185:186]
	s_delay_alu instid0(VALU_DEP_3) | instskip(SKIP_2) | instid1(VALU_DEP_3)
	v_fma_f64 v[50:51], v[179:180], s[34:35], v[187:188]
	v_fma_f64 v[189:190], v[179:180], s[14:15], v[187:188]
	v_mul_f64 v[187:188], v[164:165], s[18:19]
	v_add_f64 v[46:47], v[50:51], v[48:49]
	v_fma_f64 v[48:49], v[120:121], s[20:21], v[68:69]
	s_delay_alu instid0(VALU_DEP_4) | instskip(SKIP_2) | instid1(VALU_DEP_4)
	v_add_f64 v[42:43], v[189:190], v[42:43]
	v_mul_f64 v[189:190], v[171:172], s[10:11]
	v_fma_f64 v[88:89], v[166:167], s[14:15], v[187:188]
	v_add_f64 v[48:49], v[48:49], v[60:61]
	v_mul_f64 v[60:61], v[124:125], s[20:21]
	v_mul_f64 v[124:125], v[124:125], s[18:19]
	s_delay_alu instid0(VALU_DEP_2) | instskip(NEXT) | instid1(VALU_DEP_2)
	v_fma_f64 v[50:51], v[126:127], s[16:17], v[60:61]
	v_fma_f64 v[12:13], v[126:127], s[34:35], v[124:125]
	;; [unrolled: 1-line block ×3, first 2 shown]
	s_delay_alu instid0(VALU_DEP_3) | instskip(SKIP_1) | instid1(VALU_DEP_4)
	v_add_f64 v[50:51], v[50:51], v[76:77]
	v_mul_f64 v[76:77], v[130:131], s[28:29]
	v_add_f64 v[12:13], v[12:13], v[96:97]
	s_delay_alu instid0(VALU_DEP_4) | instskip(SKIP_1) | instid1(VALU_DEP_4)
	v_add_f64 v[36:37], v[36:37], v[70:71]
	v_fma_f64 v[70:71], v[144:145], s[20:21], -v[199:200]
	v_fma_f64 v[52:53], v[132:133], s[26:27], v[76:77]
	v_fma_f64 v[68:69], v[132:133], s[26:27], -v[76:77]
	v_fma_f64 v[76:77], v[138:139], s[2:3], v[140:141]
	v_add_f64 v[36:37], v[98:99], v[36:37]
	s_delay_alu instid0(VALU_DEP_4)
	v_add_f64 v[48:49], v[52:53], v[48:49]
	v_fma_f64 v[52:53], v[138:139], s[12:13], v[183:184]
	v_add_f64 v[30:31], v[68:69], v[30:31]
	v_add_f64 v[8:9], v[76:77], v[8:9]
	v_fma_f64 v[76:77], v[179:180], s[28:29], v[205:206]
	v_fma_f64 v[68:69], v[179:180], s[16:17], v[181:182]
	v_add_f64 v[50:51], v[52:53], v[50:51]
	v_fma_f64 v[52:53], v[144:145], s[18:19], v[185:186]
	s_delay_alu instid0(VALU_DEP_1) | instskip(SKIP_1) | instid1(VALU_DEP_1)
	v_add_f64 v[48:49], v[52:53], v[48:49]
	v_fma_f64 v[52:53], v[166:167], s[34:35], v[187:188]
	v_add_f64 v[50:51], v[52:53], v[50:51]
	v_fma_f64 v[52:53], v[173:174], s[22:23], v[189:190]
	s_delay_alu instid0(VALU_DEP_1) | instskip(SKIP_1) | instid1(VALU_DEP_1)
	v_add_f64 v[48:49], v[52:53], v[48:49]
	v_fma_f64 v[52:53], v[179:180], s[38:39], v[191:192]
	v_add_f64 v[50:51], v[52:53], v[50:51]
	v_fma_f64 v[52:53], v[120:121], s[24:25], v[193:194]
	s_delay_alu instid0(VALU_DEP_1) | instskip(SKIP_2) | instid1(VALU_DEP_2)
	v_add_f64 v[52:53], v[52:53], v[56:57]
	v_fma_f64 v[56:57], v[132:133], s[18:19], v[62:63]
	v_fma_f64 v[62:63], v[132:133], s[18:19], -v[62:63]
	v_add_f64 v[52:53], v[56:57], v[52:53]
	v_fma_f64 v[56:57], v[138:139], s[34:35], v[197:198]
	s_delay_alu instid0(VALU_DEP_3) | instskip(SKIP_1) | instid1(VALU_DEP_3)
	v_add_f64 v[34:35], v[62:63], v[34:35]
	v_fma_f64 v[62:63], v[173:174], s[26:27], -v[203:204]
	v_add_f64 v[54:55], v[56:57], v[54:55]
	v_fma_f64 v[56:57], v[144:145], s[20:21], v[199:200]
	s_delay_alu instid0(VALU_DEP_1) | instskip(SKIP_1) | instid1(VALU_DEP_1)
	v_add_f64 v[52:53], v[56:57], v[52:53]
	v_fma_f64 v[56:57], v[166:167], s[30:31], v[201:202]
	v_add_f64 v[54:55], v[56:57], v[54:55]
	v_fma_f64 v[56:57], v[173:174], s[26:27], v[203:204]
	s_delay_alu instid0(VALU_DEP_1) | instskip(SKIP_1) | instid1(VALU_DEP_1)
	v_add_f64 v[52:53], v[56:57], v[52:53]
	v_fma_f64 v[56:57], v[179:180], s[12:13], v[205:206]
	v_add_f64 v[54:55], v[56:57], v[54:55]
	v_fma_f64 v[56:57], v[120:121], s[18:19], v[102:103]
	v_fma_f64 v[102:103], v[138:139], s[14:15], v[197:198]
	s_delay_alu instid0(VALU_DEP_2) | instskip(SKIP_1) | instid1(VALU_DEP_3)
	v_add_f64 v[56:57], v[56:57], v[58:59]
	v_fma_f64 v[58:59], v[126:127], s[14:15], v[124:125]
	v_add_f64 v[14:15], v[102:103], v[14:15]
	s_delay_alu instid0(VALU_DEP_2) | instskip(SKIP_1) | instid1(VALU_DEP_3)
	v_add_f64 v[58:59], v[58:59], v[64:65]
	v_mul_f64 v[64:65], v[130:131], s[10:11]
	v_add_f64 v[14:15], v[90:91], v[14:15]
	s_delay_alu instid0(VALU_DEP_2) | instskip(SKIP_2) | instid1(VALU_DEP_4)
	v_fma_f64 v[130:131], v[132:133], s[22:23], v[64:65]
	v_fma_f64 v[60:61], v[132:133], s[22:23], -v[64:65]
	v_fma_f64 v[64:65], v[132:133], s[24:25], -v[134:135]
	v_add_f64 v[14:15], v[76:77], v[14:15]
	s_delay_alu instid0(VALU_DEP_4) | instskip(SKIP_4) | instid1(VALU_DEP_4)
	v_add_f64 v[56:57], v[130:131], v[56:57]
	v_mul_f64 v[130:131], v[136:137], s[22:23]
	v_add_f64 v[18:19], v[60:61], v[18:19]
	v_add_f64 v[26:27], v[64:65], v[26:27]
	v_fma_f64 v[60:61], v[173:174], s[22:23], -v[189:190]
	v_fma_f64 v[136:137], v[138:139], s[38:39], v[130:131]
	v_fma_f64 v[74:75], v[138:139], s[10:11], v[130:131]
	s_delay_alu instid0(VALU_DEP_4) | instskip(SKIP_1) | instid1(VALU_DEP_4)
	v_add_f64 v[26:27], v[38:39], v[26:27]
	v_add_f64 v[38:39], v[78:79], v[8:9]
	v_add_f64 v[58:59], v[136:137], v[58:59]
	v_mul_f64 v[136:137], v[142:143], s[28:29]
	v_add_f64 v[12:13], v[74:75], v[12:13]
	v_fma_f64 v[74:75], v[179:180], s[10:11], v[191:192]
	s_delay_alu instid0(VALU_DEP_3) | instskip(SKIP_1) | instid1(VALU_DEP_2)
	v_fma_f64 v[142:143], v[144:145], s[26:27], v[136:137]
	v_fma_f64 v[10:11], v[144:145], s[26:27], -v[136:137]
	v_add_f64 v[56:57], v[142:143], v[56:57]
	v_mul_f64 v[142:143], v[164:165], s[26:27]
	s_delay_alu instid0(VALU_DEP_3)
	v_add_f64 v[10:11], v[10:11], v[18:19]
	v_add_f64 v[18:19], v[66:67], v[30:31]
	;; [unrolled: 1-line block ×6, first 2 shown]
	v_fma_f64 v[164:165], v[166:167], s[12:13], v[142:143]
	v_fma_f64 v[72:73], v[166:167], s[28:29], v[142:143]
	v_add_f64 v[8:9], v[60:61], v[18:19]
	v_add_f64 v[18:19], v[68:69], v[38:39]
	;; [unrolled: 1-line block ×4, first 2 shown]
	v_mul_f64 v[164:165], v[171:172], s[2:3]
	v_mul_f64 v[171:172], v[177:178], s[24:25]
	v_add_f64 v[12:13], v[72:73], v[12:13]
	s_delay_alu instid0(VALU_DEP_3) | instskip(SKIP_1) | instid1(VALU_DEP_4)
	v_fma_f64 v[177:178], v[173:174], s[24:25], v[164:165]
	v_fma_f64 v[16:17], v[173:174], s[24:25], -v[164:165]
	v_fma_f64 v[64:65], v[179:180], s[2:3], v[171:172]
	s_delay_alu instid0(VALU_DEP_3) | instskip(SKIP_1) | instid1(VALU_DEP_4)
	v_add_f64 v[56:57], v[177:178], v[56:57]
	v_fma_f64 v[177:178], v[179:180], s[36:37], v[171:172]
	v_add_f64 v[4:5], v[16:17], v[10:11]
	s_delay_alu instid0(VALU_DEP_4)
	v_add_f64 v[6:7], v[64:65], v[12:13]
	v_add_f64 v[12:13], v[62:63], v[30:31]
	;; [unrolled: 1-line block ×5, first 2 shown]
	ds_store_b128 v168, v[40:43] offset:2688
	ds_store_b128 v168, v[48:51] offset:4032
	;; [unrolled: 1-line block ×9, first 2 shown]
	ds_store_b128 v168, v[20:23]
	ds_store_b128 v168, v[16:19] offset:13440
	s_and_saveexec_b32 s1, s0
	s_cbranch_execz .LBB0_29
; %bb.28:
	s_clause 0x4
	scratch_load_b128 v[2:5], off, off offset:788
	scratch_load_b128 v[20:23], off, off offset:852
	;; [unrolled: 1-line block ×5, first 2 shown]
	s_waitcnt vmcnt(4)
	v_mul_f64 v[0:1], v[4:5], v[116:117]
	s_delay_alu instid0(VALU_DEP_1) | instskip(SKIP_1) | instid1(VALU_DEP_1)
	v_fma_f64 v[24:25], v[2:3], v[118:119], -v[0:1]
	v_mul_f64 v[0:1], v[4:5], v[118:119]
	v_fma_f64 v[26:27], v[2:3], v[116:117], v[0:1]
	scratch_load_b128 v[2:5], off, off offset:820 ; 16-byte Folded Reload
	s_waitcnt vmcnt(0)
	v_mul_f64 v[0:1], v[4:5], v[162:163]
	s_delay_alu instid0(VALU_DEP_1) | instskip(SKIP_1) | instid1(VALU_DEP_1)
	v_fma_f64 v[10:11], v[2:3], v[160:161], v[0:1]
	v_mul_f64 v[0:1], v[4:5], v[160:161]
	v_fma_f64 v[14:15], v[2:3], v[162:163], -v[0:1]
	scratch_load_b128 v[2:5], off, off offset:836 ; 16-byte Folded Reload
	s_waitcnt vmcnt(0)
	v_mul_f64 v[0:1], v[4:5], v[150:151]
	s_delay_alu instid0(VALU_DEP_1) | instskip(SKIP_1) | instid1(VALU_DEP_2)
	v_fma_f64 v[8:9], v[2:3], v[148:149], v[0:1]
	v_mul_f64 v[0:1], v[4:5], v[148:149]
	v_add_f64 v[118:119], v[10:11], -v[8:9]
	s_delay_alu instid0(VALU_DEP_2)
	v_fma_f64 v[12:13], v[2:3], v[150:151], -v[0:1]
	scratch_load_b128 v[2:5], off, off offset:804 ; 16-byte Folded Reload
	v_add_f64 v[126:127], v[10:11], v[8:9]
	v_mul_f64 v[122:123], v[118:119], s[2:3]
	v_add_f64 v[124:125], v[14:15], -v[12:13]
	v_add_f64 v[120:121], v[14:15], v[12:13]
	v_mul_f64 v[142:143], v[118:119], s[10:11]
	s_delay_alu instid0(VALU_DEP_3) | instskip(SKIP_3) | instid1(VALU_DEP_1)
	v_mul_f64 v[128:129], v[124:125], s[2:3]
	v_mul_f64 v[144:145], v[124:125], s[10:11]
	s_waitcnt vmcnt(0)
	v_mul_f64 v[0:1], v[4:5], v[158:159]
	v_fma_f64 v[16:17], v[2:3], v[156:157], v[0:1]
	v_mul_f64 v[0:1], v[4:5], v[156:157]
	s_delay_alu instid0(VALU_DEP_1) | instskip(SKIP_1) | instid1(VALU_DEP_1)
	v_fma_f64 v[18:19], v[2:3], v[158:159], -v[0:1]
	v_mul_f64 v[0:1], v[22:23], v[154:155]
	v_fma_f64 v[4:5], v[20:21], v[152:153], v[0:1]
	v_mul_f64 v[0:1], v[22:23], v[152:153]
	s_delay_alu instid0(VALU_DEP_1) | instskip(SKIP_1) | instid1(VALU_DEP_1)
	v_fma_f64 v[6:7], v[20:21], v[154:155], -v[0:1]
	v_mul_f64 v[0:1], v[30:31], v[114:115]
	v_fma_f64 v[20:21], v[28:29], v[112:113], v[0:1]
	v_mul_f64 v[0:1], v[30:31], v[112:113]
	scratch_load_b128 v[30:33], off, off offset:868 ; 16-byte Folded Reload
	v_add_f64 v[112:113], v[16:17], v[4:5]
	v_fma_f64 v[22:23], v[28:29], v[114:115], -v[0:1]
	v_mul_f64 v[28:29], v[40:41], v[110:111]
	s_delay_alu instid0(VALU_DEP_1) | instskip(SKIP_1) | instid1(VALU_DEP_2)
	v_fma_f64 v[48:49], v[38:39], v[108:109], v[28:29]
	v_mul_f64 v[28:29], v[46:47], v[94:95]
	v_add_f64 v[100:101], v[20:21], v[48:49]
	s_delay_alu instid0(VALU_DEP_2) | instskip(SKIP_3) | instid1(VALU_DEP_2)
	v_fma_f64 v[56:57], v[44:45], v[92:93], v[28:29]
	s_waitcnt vmcnt(0)
	v_mul_f64 v[0:1], v[32:33], v[106:107]
	v_mul_f64 v[2:3], v[32:33], v[104:105]
	v_fma_f64 v[0:1], v[30:31], v[104:105], v[0:1]
	s_delay_alu instid0(VALU_DEP_2)
	v_fma_f64 v[2:3], v[30:31], v[106:107], -v[2:3]
	v_mul_f64 v[30:31], v[40:41], v[108:109]
	scratch_load_b128 v[40:43], off, off offset:720 ; 16-byte Folded Reload
	v_add_f64 v[106:107], v[18:19], v[6:7]
	v_add_f64 v[34:35], v[26:27], -v[0:1]
	v_add_f64 v[70:71], v[26:27], v[0:1]
	v_fma_f64 v[50:51], v[38:39], v[110:111], -v[30:31]
	v_mul_f64 v[30:31], v[46:47], v[92:93]
	s_delay_alu instid0(VALU_DEP_4) | instskip(NEXT) | instid1(VALU_DEP_3)
	v_mul_f64 v[38:39], v[34:35], s[16:17]
	v_add_f64 v[96:97], v[22:23], v[50:51]
	s_delay_alu instid0(VALU_DEP_3)
	v_fma_f64 v[58:59], v[44:45], v[94:95], -v[30:31]
	v_add_f64 v[94:95], v[20:21], -v[48:49]
	s_waitcnt vmcnt(0)
	v_mul_f64 v[32:33], v[42:43], v[86:87]
	v_mul_f64 v[36:37], v[42:43], v[84:85]
	;; [unrolled: 1-line block ×3, first 2 shown]
	s_delay_alu instid0(VALU_DEP_3) | instskip(SKIP_1) | instid1(VALU_DEP_4)
	v_fma_f64 v[52:53], v[40:41], v[84:85], v[32:33]
	v_add_f64 v[32:33], v[24:25], v[2:3]
	v_fma_f64 v[54:55], v[40:41], v[86:87], -v[36:37]
	v_mul_f64 v[36:37], v[34:35], s[10:11]
	v_mul_f64 v[40:41], v[34:35], s[2:3]
	;; [unrolled: 1-line block ×3, first 2 shown]
	v_add_f64 v[86:87], v[80:81], v[26:27]
	v_add_f64 v[92:93], v[52:53], v[56:57]
	v_fma_f64 v[28:29], v[32:33], s[20:21], v[38:39]
	v_fma_f64 v[30:31], v[32:33], s[20:21], -v[38:39]
	v_fma_f64 v[38:39], v[32:33], s[22:23], v[36:37]
	v_fma_f64 v[36:37], v[32:33], s[22:23], -v[36:37]
	;; [unrolled: 2-line block ×3, first 2 shown]
	v_fma_f64 v[46:47], v[32:33], s[26:27], -v[42:43]
	v_fma_f64 v[42:43], v[32:33], s[26:27], v[42:43]
	v_fma_f64 v[60:61], v[32:33], s[18:19], v[34:35]
	v_fma_f64 v[32:33], v[32:33], s[18:19], -v[34:35]
	v_add_f64 v[34:35], v[24:25], -v[2:3]
	v_add_f64 v[88:89], v[54:55], v[58:59]
	v_add_f64 v[90:91], v[54:55], -v[58:59]
	v_add_f64 v[38:39], v[82:83], v[38:39]
	v_add_f64 v[36:37], v[82:83], v[36:37]
	;; [unrolled: 1-line block ×3, first 2 shown]
	v_mul_f64 v[62:63], v[34:35], s[16:17]
	v_mul_f64 v[64:65], v[34:35], s[10:11]
	;; [unrolled: 1-line block ×6, first 2 shown]
	v_fma_f64 v[72:73], v[70:71], s[20:21], -v[62:63]
	v_fma_f64 v[62:63], v[70:71], s[20:21], v[62:63]
	v_fma_f64 v[74:75], v[70:71], s[22:23], -v[64:65]
	v_fma_f64 v[76:77], v[70:71], s[24:25], v[66:67]
	v_fma_f64 v[78:79], v[70:71], s[26:27], v[68:69]
	;; [unrolled: 1-line block ×4, first 2 shown]
	v_fma_f64 v[66:67], v[70:71], s[24:25], -v[66:67]
	v_fma_f64 v[68:69], v[70:71], s[26:27], -v[68:69]
	v_fma_f64 v[34:35], v[70:71], s[18:19], -v[34:35]
	v_add_f64 v[70:71], v[82:83], v[24:25]
	v_add_f64 v[24:25], v[82:83], v[28:29]
	;; [unrolled: 1-line block ×14, first 2 shown]
	v_add_f64 v[84:85], v[52:53], -v[56:57]
	v_add_f64 v[64:65], v[80:81], v[64:65]
	v_add_f64 v[66:67], v[80:81], v[66:67]
	;; [unrolled: 1-line block ×6, first 2 shown]
	v_fma_f64 v[86:87], v[92:93], s[20:21], -v[132:133]
	v_mul_f64 v[32:33], v[84:85], s[34:35]
	v_mul_f64 v[130:131], v[84:85], s[30:31]
	v_add_f64 v[20:21], v[52:53], v[20:21]
	v_mul_f64 v[52:53], v[84:85], s[12:13]
	v_add_f64 v[66:67], v[86:87], v[66:67]
	v_fma_f64 v[34:35], v[88:89], s[18:19], v[32:33]
	v_fma_f64 v[32:33], v[88:89], s[18:19], -v[32:33]
	s_delay_alu instid0(VALU_DEP_4) | instskip(SKIP_1) | instid1(VALU_DEP_4)
	v_fma_f64 v[70:71], v[88:89], s[26:27], v[52:53]
	v_fma_f64 v[52:53], v[88:89], s[26:27], -v[52:53]
	v_add_f64 v[24:25], v[34:35], v[24:25]
	v_mul_f64 v[34:35], v[90:91], s[34:35]
	v_add_f64 v[28:29], v[32:33], v[28:29]
	v_add_f64 v[60:61], v[70:71], v[60:61]
	;; [unrolled: 1-line block ×3, first 2 shown]
	s_delay_alu instid0(VALU_DEP_4) | instskip(SKIP_2) | instid1(VALU_DEP_3)
	v_fma_f64 v[42:43], v[92:93], s[18:19], -v[34:35]
	v_fma_f64 v[32:33], v[92:93], s[18:19], v[34:35]
	v_fma_f64 v[34:35], v[126:127], s[24:25], v[128:129]
	v_add_f64 v[26:27], v[42:43], v[26:27]
	v_mul_f64 v[42:43], v[94:95], s[10:11]
	s_delay_alu instid0(VALU_DEP_4) | instskip(NEXT) | instid1(VALU_DEP_2)
	v_add_f64 v[30:31], v[32:33], v[30:31]
	v_fma_f64 v[98:99], v[96:97], s[22:23], v[42:43]
	v_fma_f64 v[32:33], v[96:97], s[22:23], -v[42:43]
	v_mul_f64 v[42:43], v[84:85], s[36:37]
	s_delay_alu instid0(VALU_DEP_3) | instskip(SKIP_1) | instid1(VALU_DEP_4)
	v_add_f64 v[24:25], v[98:99], v[24:25]
	v_add_f64 v[98:99], v[22:23], -v[50:51]
	v_add_f64 v[28:29], v[32:33], v[28:29]
	v_add_f64 v[22:23], v[54:55], v[22:23]
	v_fma_f64 v[54:55], v[88:89], s[20:21], v[130:131]
	s_delay_alu instid0(VALU_DEP_4) | instskip(NEXT) | instid1(VALU_DEP_2)
	v_mul_f64 v[102:103], v[98:99], s[10:11]
	v_add_f64 v[54:55], v[54:55], v[72:73]
	s_delay_alu instid0(VALU_DEP_2) | instskip(SKIP_1) | instid1(VALU_DEP_2)
	v_fma_f64 v[104:105], v[100:101], s[22:23], -v[102:103]
	v_fma_f64 v[32:33], v[100:101], s[22:23], v[102:103]
	v_add_f64 v[26:27], v[104:105], v[26:27]
	v_add_f64 v[104:105], v[16:17], -v[4:5]
	s_delay_alu instid0(VALU_DEP_3) | instskip(SKIP_2) | instid1(VALU_DEP_4)
	v_add_f64 v[30:31], v[32:33], v[30:31]
	v_add_f64 v[16:17], v[20:21], v[16:17]
	v_mul_f64 v[20:21], v[98:99], s[2:3]
	v_mul_f64 v[108:109], v[104:105], s[28:29]
	s_delay_alu instid0(VALU_DEP_3) | instskip(SKIP_1) | instid1(VALU_DEP_3)
	v_add_f64 v[10:11], v[16:17], v[10:11]
	v_mul_f64 v[16:17], v[104:105], s[10:11]
	v_fma_f64 v[110:111], v[106:107], s[26:27], v[108:109]
	v_fma_f64 v[32:33], v[106:107], s[26:27], -v[108:109]
	s_delay_alu instid0(VALU_DEP_4) | instskip(NEXT) | instid1(VALU_DEP_3)
	v_add_f64 v[8:9], v[10:11], v[8:9]
	v_add_f64 v[24:25], v[110:111], v[24:25]
	v_add_f64 v[110:111], v[18:19], -v[6:7]
	s_delay_alu instid0(VALU_DEP_4)
	v_add_f64 v[28:29], v[32:33], v[28:29]
	v_add_f64 v[18:19], v[22:23], v[18:19]
	;; [unrolled: 1-line block ×3, first 2 shown]
	v_mul_f64 v[8:9], v[118:119], s[16:17]
	v_mul_f64 v[114:115], v[110:111], s[28:29]
	;; [unrolled: 1-line block ×3, first 2 shown]
	v_add_f64 v[14:15], v[18:19], v[14:15]
	v_add_f64 v[4:5], v[4:5], v[48:49]
	v_fma_f64 v[78:79], v[120:121], s[20:21], -v[8:9]
	v_mul_f64 v[48:49], v[124:125], s[16:17]
	v_fma_f64 v[32:33], v[112:113], s[26:27], v[114:115]
	v_fma_f64 v[116:117], v[112:113], s[26:27], -v[114:115]
	v_add_f64 v[12:13], v[14:15], v[12:13]
	v_add_f64 v[56:57], v[4:5], v[56:57]
	s_delay_alu instid0(VALU_DEP_4)
	v_add_f64 v[32:33], v[32:33], v[30:31]
	v_fma_f64 v[30:31], v[120:121], s[24:25], -v[122:123]
	v_add_f64 v[116:117], v[116:117], v[26:27]
	v_fma_f64 v[26:27], v[120:121], s[24:25], v[122:123]
	v_mul_f64 v[122:123], v[118:119], s[28:29]
	v_add_f64 v[6:7], v[12:13], v[6:7]
	v_fma_f64 v[12:13], v[120:121], s[22:23], v[142:143]
	v_add_f64 v[0:1], v[56:57], v[0:1]
	v_add_f64 v[30:31], v[30:31], v[28:29]
	;; [unrolled: 1-line block ×3, first 2 shown]
	v_fma_f64 v[32:33], v[88:89], s[24:25], v[42:43]
	v_fma_f64 v[42:43], v[88:89], s[24:25], -v[42:43]
	v_add_f64 v[26:27], v[26:27], v[24:25]
	v_fma_f64 v[24:25], v[126:127], s[24:25], -v[128:129]
	v_mul_f64 v[128:129], v[124:125], s[28:29]
	v_add_f64 v[6:7], v[6:7], v[50:51]
	v_fma_f64 v[50:51], v[126:127], s[22:23], -v[144:145]
	v_add_f64 v[32:33], v[32:33], v[38:39]
	v_mul_f64 v[38:39], v[90:91], s[36:37]
	v_add_f64 v[36:37], v[42:43], v[36:37]
	v_add_f64 v[24:25], v[24:25], v[116:117]
	s_delay_alu instid0(VALU_DEP_3) | instskip(SKIP_1) | instid1(VALU_DEP_2)
	v_fma_f64 v[34:35], v[92:93], s[24:25], -v[38:39]
	v_fma_f64 v[38:39], v[92:93], s[24:25], v[38:39]
	v_add_f64 v[34:35], v[34:35], v[62:63]
	v_mul_f64 v[62:63], v[94:95], s[14:15]
	s_delay_alu instid0(VALU_DEP_3) | instskip(SKIP_1) | instid1(VALU_DEP_3)
	v_add_f64 v[38:39], v[38:39], v[64:65]
	v_mul_f64 v[64:65], v[90:91], s[10:11]
	v_fma_f64 v[102:103], v[96:97], s[18:19], v[62:63]
	v_fma_f64 v[42:43], v[96:97], s[18:19], -v[62:63]
	v_fma_f64 v[62:63], v[126:127], s[26:27], v[128:129]
	s_delay_alu instid0(VALU_DEP_3) | instskip(SKIP_1) | instid1(VALU_DEP_4)
	v_add_f64 v[32:33], v[102:103], v[32:33]
	v_mul_f64 v[102:103], v[98:99], s[14:15]
	v_add_f64 v[36:37], v[42:43], v[36:37]
	s_delay_alu instid0(VALU_DEP_2) | instskip(SKIP_2) | instid1(VALU_DEP_3)
	v_fma_f64 v[108:109], v[100:101], s[18:19], -v[102:103]
	v_fma_f64 v[42:43], v[100:101], s[18:19], v[102:103]
	v_mul_f64 v[102:103], v[94:95], s[30:31]
	v_add_f64 v[34:35], v[108:109], v[34:35]
	v_mul_f64 v[108:109], v[104:105], s[16:17]
	s_delay_alu instid0(VALU_DEP_4) | instskip(NEXT) | instid1(VALU_DEP_2)
	v_add_f64 v[38:39], v[42:43], v[38:39]
	v_fma_f64 v[114:115], v[106:107], s[20:21], v[108:109]
	v_fma_f64 v[42:43], v[106:107], s[20:21], -v[108:109]
	v_mul_f64 v[108:109], v[98:99], s[30:31]
	s_delay_alu instid0(VALU_DEP_3) | instskip(SKIP_1) | instid1(VALU_DEP_4)
	v_add_f64 v[32:33], v[114:115], v[32:33]
	v_mul_f64 v[114:115], v[110:111], s[16:17]
	v_add_f64 v[36:37], v[42:43], v[36:37]
	s_delay_alu instid0(VALU_DEP_2) | instskip(SKIP_2) | instid1(VALU_DEP_3)
	v_fma_f64 v[42:43], v[112:113], s[20:21], v[114:115]
	v_fma_f64 v[116:117], v[112:113], s[20:21], -v[114:115]
	v_mul_f64 v[114:115], v[104:105], s[36:37]
	v_add_f64 v[42:43], v[42:43], v[38:39]
	v_fma_f64 v[38:39], v[120:121], s[26:27], -v[122:123]
	s_delay_alu instid0(VALU_DEP_4) | instskip(SKIP_2) | instid1(VALU_DEP_4)
	v_add_f64 v[116:117], v[116:117], v[34:35]
	v_fma_f64 v[34:35], v[120:121], s[26:27], v[122:123]
	v_mul_f64 v[122:123], v[118:119], s[34:35]
	v_add_f64 v[38:39], v[38:39], v[36:37]
	v_add_f64 v[36:37], v[62:63], v[42:43]
	v_mul_f64 v[62:63], v[84:85], s[10:11]
	v_add_f64 v[34:35], v[34:35], v[32:33]
	v_fma_f64 v[32:33], v[126:127], s[26:27], -v[128:129]
	v_mul_f64 v[128:129], v[124:125], s[34:35]
	v_mul_f64 v[84:85], v[90:91], s[12:13]
	;; [unrolled: 1-line block ×3, first 2 shown]
	v_fma_f64 v[72:73], v[120:121], s[18:19], v[122:123]
	v_fma_f64 v[42:43], v[88:89], s[22:23], -v[62:63]
	v_fma_f64 v[62:63], v[88:89], s[22:23], v[62:63]
	v_add_f64 v[32:33], v[32:33], v[116:117]
	v_mul_f64 v[116:117], v[110:111], s[36:37]
	s_delay_alu instid0(VALU_DEP_4) | instskip(SKIP_4) | instid1(VALU_DEP_4)
	v_add_f64 v[40:41], v[42:43], v[40:41]
	v_fma_f64 v[42:43], v[92:93], s[22:23], v[64:65]
	v_fma_f64 v[64:65], v[92:93], s[22:23], -v[64:65]
	v_add_f64 v[62:63], v[62:63], v[76:77]
	v_fma_f64 v[76:77], v[120:121], s[20:21], v[8:9]
	v_add_f64 v[42:43], v[42:43], v[46:47]
	v_fma_f64 v[46:47], v[96:97], s[20:21], -v[102:103]
	v_add_f64 v[64:65], v[64:65], v[68:69]
	s_delay_alu instid0(VALU_DEP_2) | instskip(SKIP_1) | instid1(VALU_DEP_1)
	v_add_f64 v[40:41], v[46:47], v[40:41]
	v_fma_f64 v[46:47], v[100:101], s[20:21], v[108:109]
	v_add_f64 v[42:43], v[46:47], v[42:43]
	v_fma_f64 v[46:47], v[106:107], s[24:25], -v[114:115]
	s_delay_alu instid0(VALU_DEP_1) | instskip(SKIP_1) | instid1(VALU_DEP_1)
	v_add_f64 v[40:41], v[46:47], v[40:41]
	v_fma_f64 v[46:47], v[112:113], s[24:25], v[116:117]
	v_add_f64 v[46:47], v[46:47], v[42:43]
	v_fma_f64 v[42:43], v[120:121], s[18:19], -v[122:123]
	s_delay_alu instid0(VALU_DEP_1) | instskip(SKIP_1) | instid1(VALU_DEP_1)
	v_add_f64 v[42:43], v[42:43], v[40:41]
	v_fma_f64 v[40:41], v[126:127], s[18:19], v[128:129]
	v_add_f64 v[40:41], v[40:41], v[46:47]
	v_fma_f64 v[46:47], v[88:89], s[20:21], -v[130:131]
	v_fma_f64 v[88:89], v[92:93], s[26:27], -v[84:85]
	v_fma_f64 v[84:85], v[92:93], s[26:27], v[84:85]
	s_delay_alu instid0(VALU_DEP_3) | instskip(SKIP_2) | instid1(VALU_DEP_4)
	v_add_f64 v[44:45], v[46:47], v[44:45]
	v_fma_f64 v[46:47], v[92:93], s[20:21], v[132:133]
	v_fma_f64 v[92:93], v[96:97], s[20:21], v[102:103]
	v_add_f64 v[68:69], v[84:85], v[82:83]
	v_add_f64 v[70:71], v[88:89], v[80:81]
	v_fma_f64 v[102:103], v[106:107], s[22:23], v[16:17]
	v_fma_f64 v[16:17], v[106:107], s[22:23], -v[16:17]
	v_add_f64 v[46:47], v[46:47], v[74:75]
	v_mul_f64 v[74:75], v[94:95], s[28:29]
	v_fma_f64 v[94:95], v[96:97], s[24:25], v[90:91]
	v_fma_f64 v[90:91], v[96:97], s[24:25], -v[90:91]
	s_delay_alu instid0(VALU_DEP_3) | instskip(SKIP_2) | instid1(VALU_DEP_4)
	v_fma_f64 v[134:135], v[96:97], s[26:27], -v[74:75]
	v_fma_f64 v[74:75], v[96:97], s[26:27], v[74:75]
	v_fma_f64 v[96:97], v[100:101], s[20:21], -v[108:109]
	v_add_f64 v[52:53], v[90:91], v[52:53]
	v_add_f64 v[60:61], v[94:95], v[60:61]
	;; [unrolled: 1-line block ×3, first 2 shown]
	v_mul_f64 v[134:135], v[98:99], s[28:29]
	v_fma_f64 v[98:99], v[100:101], s[24:25], -v[20:21]
	v_fma_f64 v[20:21], v[100:101], s[24:25], v[20:21]
	v_add_f64 v[8:9], v[74:75], v[54:55]
	v_add_f64 v[54:55], v[92:93], v[62:63]
	;; [unrolled: 1-line block ×5, first 2 shown]
	v_fma_f64 v[136:137], v[100:101], s[26:27], v[134:135]
	v_fma_f64 v[22:23], v[100:101], s[26:27], -v[134:135]
	v_fma_f64 v[100:101], v[106:107], s[24:25], v[114:115]
	v_add_f64 v[20:21], v[20:21], v[68:69]
	v_add_f64 v[64:65], v[98:99], v[70:71]
	v_fma_f64 v[68:69], v[126:127], s[20:21], -v[48:49]
	v_fma_f64 v[48:49], v[126:127], s[20:21], v[48:49]
	v_add_f64 v[2:3], v[52:53], v[2:3]
	v_add_f64 v[46:47], v[136:137], v[46:47]
	v_mul_f64 v[136:137], v[104:105], s[14:15]
	v_add_f64 v[22:23], v[22:23], v[66:67]
	v_fma_f64 v[104:105], v[112:113], s[24:25], -v[116:117]
	v_fma_f64 v[66:67], v[126:127], s[18:19], -v[128:129]
	s_delay_alu instid0(VALU_DEP_4) | instskip(SKIP_3) | instid1(VALU_DEP_4)
	v_fma_f64 v[138:139], v[106:107], s[18:19], -v[136:137]
	v_fma_f64 v[18:19], v[106:107], s[18:19], v[136:137]
	v_fma_f64 v[106:107], v[112:113], s[22:23], -v[10:11]
	v_fma_f64 v[10:11], v[112:113], s[22:23], v[10:11]
	v_add_f64 v[44:45], v[138:139], v[44:45]
	v_mul_f64 v[138:139], v[110:111], s[14:15]
	v_add_f64 v[8:9], v[18:19], v[8:9]
	v_add_f64 v[18:19], v[100:101], v[54:55]
	;; [unrolled: 1-line block ×5, first 2 shown]
	v_fma_f64 v[140:141], v[112:113], s[18:19], v[138:139]
	v_fma_f64 v[14:15], v[112:113], s[18:19], -v[138:139]
	v_add_f64 v[6:7], v[12:13], v[8:9]
	v_add_f64 v[10:11], v[72:73], v[18:19]
	;; [unrolled: 1-line block ×6, first 2 shown]
	v_fma_f64 v[46:47], v[120:121], s[22:23], -v[142:143]
	v_add_f64 v[14:15], v[14:15], v[22:23]
	v_add_f64 v[22:23], v[104:105], v[62:63]
	s_delay_alu instid0(VALU_DEP_3) | instskip(SKIP_1) | instid1(VALU_DEP_4)
	v_add_f64 v[46:47], v[46:47], v[44:45]
	v_fma_f64 v[44:45], v[126:127], s[22:23], v[144:145]
	v_add_f64 v[4:5], v[50:51], v[14:15]
	s_delay_alu instid0(VALU_DEP_4) | instskip(SKIP_1) | instid1(VALU_DEP_4)
	v_add_f64 v[8:9], v[66:67], v[22:23]
	v_add_f64 v[14:15], v[76:77], v[54:55]
	;; [unrolled: 1-line block ×3, first 2 shown]
	ds_store_b128 v168, v[40:43] offset:3392
	ds_store_b128 v168, v[44:47] offset:4736
	ds_store_b128 v168, v[36:39] offset:6080
	ds_store_b128 v168, v[28:31] offset:7424
	ds_store_b128 v168, v[24:27] offset:8768
	ds_store_b128 v168, v[32:35] offset:10112
	ds_store_b128 v168, v[4:7] offset:11456
	ds_store_b128 v168, v[8:11] offset:12800
	ds_store_b128 v168, v[16:19] offset:2048
	ds_store_b128 v168, v[0:3] offset:704
	ds_store_b128 v168, v[12:15] offset:14144
.LBB0_29:
	s_or_b32 exec_lo, exec_lo, s1
	s_waitcnt lgkmcnt(0)
	s_barrier
	buffer_gl0_inv
	ds_load_b128 v[0:3], v168
	ds_load_b128 v[4:7], v168 offset:7392
	ds_load_b128 v[8:11], v168 offset:704
	;; [unrolled: 1-line block ×5, first 2 shown]
	s_clause 0x4
	scratch_load_b128 v[98:101], off, off offset:20
	scratch_load_b128 v[106:109], off, off offset:284
	;; [unrolled: 1-line block ×3, first 2 shown]
	scratch_load_b64 v[24:25], off, off offset:12
	scratch_load_b32 v97, off, off
	s_mov_b32 s2, 0x4046ed29
	s_mov_b32 s3, 0x3f51bb4a
	s_mul_i32 s1, s5, 0x1ce
	s_mul_hi_u32 s12, s4, 0x1ce
	s_mul_hi_u32 s11, s4, 0xfffffe5e
	s_mul_i32 s0, s4, 0x1ce
	s_mul_i32 s10, s5, 0xfffffe5e
	s_add_i32 s1, s12, s1
	s_waitcnt vmcnt(4) lgkmcnt(5)
	v_mul_f64 v[68:69], v[100:101], v[2:3]
	v_mul_f64 v[70:71], v[100:101], v[0:1]
	scratch_load_b128 v[100:103], off, off offset:44 ; 16-byte Folded Reload
	s_waitcnt vmcnt(4) lgkmcnt(2)
	v_mul_f64 v[80:81], v[108:109], v[14:15]
	v_mul_f64 v[82:83], v[108:109], v[12:13]
	s_waitcnt vmcnt(2)
	v_mov_b32_e32 v96, v24
	ds_load_b128 v[24:27], v168 offset:8800
	v_mul_f64 v[74:75], v[117:118], v[4:5]
	v_mul_f64 v[72:73], v[117:118], v[6:7]
	s_waitcnt vmcnt(1)
	v_mad_u64_u32 v[90:91], null, s4, v97, 0
	v_mad_u64_u32 v[88:89], null, s6, v96, 0
	s_mul_i32 s6, s4, 0xfffffe5e
	s_sub_i32 s4, s11, s4
	v_fma_f64 v[0:1], v[98:99], v[0:1], v[68:69]
	v_fma_f64 v[2:3], v[98:99], v[2:3], -v[70:71]
	s_delay_alu instid0(VALU_DEP_3)
	v_mad_u64_u32 v[69:70], null, s7, v96, v[89:90]
	v_fma_f64 v[12:13], v[106:107], v[12:13], v[80:81]
	v_fma_f64 v[14:15], v[106:107], v[14:15], -v[82:83]
	v_mov_b32_e32 v68, v91
	v_fma_f64 v[6:7], v[115:116], v[6:7], -v[74:75]
	v_fma_f64 v[4:5], v[115:116], v[4:5], v[72:73]
	s_add_i32 s7, s4, s10
	v_mov_b32_e32 v89, v69
	v_mad_u64_u32 v[74:75], null, s5, v97, v[68:69]
	s_lshl_b64 s[4:5], s[0:1], 4
	s_lshl_b64 s[6:7], s[6:7], 4
	s_delay_alu instid0(VALU_DEP_2) | instskip(NEXT) | instid1(VALU_DEP_2)
	v_lshlrev_b64 v[81:82], 4, v[88:89]
	v_mov_b32_e32 v91, v74
	s_delay_alu instid0(VALU_DEP_2) | instskip(NEXT) | instid1(VALU_DEP_1)
	v_add_co_u32 v74, s0, s8, v81
	v_add_co_ci_u32_e64 v82, s0, s9, v82, s0
	s_delay_alu instid0(VALU_DEP_3) | instskip(NEXT) | instid1(VALU_DEP_1)
	v_lshlrev_b64 v[89:90], 4, v[90:91]
	v_add_co_u32 v81, s0, v74, v89
	s_delay_alu instid0(VALU_DEP_1) | instskip(NEXT) | instid1(VALU_DEP_2)
	v_add_co_ci_u32_e64 v82, s0, v82, v90, s0
	v_add_co_u32 v89, s0, v81, s4
	v_mul_f64 v[0:1], v[0:1], s[2:3]
	v_mul_f64 v[2:3], v[2:3], s[2:3]
	s_delay_alu instid0(VALU_DEP_4)
	v_add_co_ci_u32_e64 v90, s0, s5, v82, s0
	v_mul_f64 v[12:13], v[12:13], s[2:3]
	v_mul_f64 v[14:15], v[14:15], s[2:3]
	;; [unrolled: 1-line block ×4, first 2 shown]
	s_waitcnt vmcnt(0)
	v_mul_f64 v[76:77], v[102:103], v[10:11]
	v_mul_f64 v[78:79], v[102:103], v[8:9]
	scratch_load_b128 v[102:105], off, off offset:60 ; 16-byte Folded Reload
	ds_load_b128 v[28:31], v168 offset:9504
	ds_load_b128 v[32:35], v168 offset:2816
	;; [unrolled: 1-line block ×10, first 2 shown]
	s_clause 0x2
	scratch_load_b128 v[111:114], off, off offset:268
	scratch_load_b128 v[123:126], off, off offset:188
	;; [unrolled: 1-line block ×3, first 2 shown]
	v_fma_f64 v[8:9], v[100:101], v[8:9], v[76:77]
	v_fma_f64 v[10:11], v[100:101], v[10:11], -v[78:79]
	scratch_load_b128 v[98:101], off, off offset:76 ; 16-byte Folded Reload
	v_mul_f64 v[8:9], v[8:9], s[2:3]
	v_mul_f64 v[10:11], v[10:11], s[2:3]
	s_waitcnt vmcnt(4) lgkmcnt(12)
	v_mul_f64 v[84:85], v[104:105], v[18:19]
	v_mul_f64 v[86:87], v[104:105], v[16:17]
	scratch_load_b128 v[104:107], off, off offset:252 ; 16-byte Folded Reload
	s_waitcnt vmcnt(4) lgkmcnt(10)
	v_mul_f64 v[92:93], v[113:114], v[26:27]
	v_mul_f64 v[94:95], v[113:114], v[24:25]
	v_fma_f64 v[16:17], v[102:103], v[16:17], v[84:85]
	v_fma_f64 v[18:19], v[102:103], v[18:19], -v[86:87]
	s_waitcnt vmcnt(3) lgkmcnt(6)
	v_mul_f64 v[83:84], v[125:126], v[42:43]
	v_fma_f64 v[24:25], v[111:112], v[24:25], v[92:93]
	v_fma_f64 v[26:27], v[111:112], v[26:27], -v[94:95]
	v_mul_f64 v[85:86], v[125:126], v[40:41]
	s_waitcnt vmcnt(2) lgkmcnt(5)
	v_mul_f64 v[93:94], v[119:120], v[44:45]
	v_mul_f64 v[16:17], v[16:17], s[2:3]
	;; [unrolled: 1-line block ×3, first 2 shown]
	v_fma_f64 v[40:41], v[123:124], v[40:41], v[83:84]
	v_fma_f64 v[42:43], v[123:124], v[42:43], -v[85:86]
	s_waitcnt vmcnt(0)
	v_mul_f64 v[75:76], v[106:107], v[30:31]
	v_mul_f64 v[77:78], v[106:107], v[28:29]
	scratch_load_b128 v[107:110], off, off offset:92 ; 16-byte Folded Reload
	v_mul_f64 v[70:71], v[100:101], v[22:23]
	v_mul_f64 v[72:73], v[100:101], v[20:21]
	scratch_load_b128 v[100:103], off, off offset:108 ; 16-byte Folded Reload
	s_clause 0x1
	global_store_b128 v[81:82], v[0:3], off
	global_store_b128 v[89:90], v[4:7], off
	ds_load_b128 v[0:3], v168 offset:5632
	v_fma_f64 v[28:29], v[104:105], v[28:29], v[75:76]
	v_fma_f64 v[30:31], v[104:105], v[30:31], -v[77:78]
	v_fma_f64 v[70:71], v[98:99], v[20:21], v[70:71]
	v_fma_f64 v[72:73], v[98:99], v[22:23], -v[72:73]
	v_mul_f64 v[20:21], v[24:25], s[2:3]
	v_mul_f64 v[22:23], v[26:27], s[2:3]
	s_waitcnt vmcnt(1)
	v_mul_f64 v[87:88], v[109:110], v[38:39]
	v_mul_f64 v[74:75], v[109:110], v[36:37]
	s_waitcnt vmcnt(0)
	v_mul_f64 v[68:69], v[102:103], v[32:33]
	v_mul_f64 v[79:80], v[102:103], v[34:35]
	s_delay_alu instid0(VALU_DEP_4) | instskip(NEXT) | instid1(VALU_DEP_4)
	v_fma_f64 v[36:37], v[107:108], v[36:37], v[87:88]
	v_fma_f64 v[38:39], v[107:108], v[38:39], -v[74:75]
	s_delay_alu instid0(VALU_DEP_4) | instskip(SKIP_1) | instid1(VALU_DEP_1)
	v_fma_f64 v[34:35], v[100:101], v[34:35], -v[68:69]
	v_add_co_u32 v68, s0, v89, s6
	v_add_co_ci_u32_e64 v69, s0, s7, v90, s0
	v_fma_f64 v[32:33], v[100:101], v[32:33], v[79:80]
	s_delay_alu instid0(VALU_DEP_3) | instskip(NEXT) | instid1(VALU_DEP_1)
	v_add_co_u32 v76, s0, v68, s4
	v_add_co_ci_u32_e64 v77, s0, s5, v69, s0
	v_mul_f64 v[78:79], v[119:120], v[46:47]
	s_delay_alu instid0(VALU_DEP_3) | instskip(NEXT) | instid1(VALU_DEP_1)
	v_add_co_u32 v91, s0, v76, s6
	v_add_co_ci_u32_e64 v92, s0, s7, v77, s0
	s_clause 0x2
	global_store_b128 v[68:69], v[8:11], off
	global_store_b128 v[76:77], v[12:15], off
	;; [unrolled: 1-line block ×3, first 2 shown]
	scratch_load_b128 v[129:132], off, off offset:220 ; 16-byte Folded Reload
	v_add_co_u32 v95, s0, v91, s4
	s_delay_alu instid0(VALU_DEP_1)
	v_add_co_ci_u32_e64 v96, s0, s5, v92, s0
	ds_load_b128 v[4:7], v168 offset:6336
	ds_load_b128 v[12:15], v168 offset:13728
	s_clause 0x3
	scratch_load_b128 v[119:122], off, off offset:172
	scratch_load_b128 v[125:128], off, off offset:204
	;; [unrolled: 1-line block ×4, first 2 shown]
	v_mul_f64 v[8:9], v[70:71], s[2:3]
	v_mul_f64 v[10:11], v[72:73], s[2:3]
	;; [unrolled: 1-line block ×4, first 2 shown]
	v_add_co_u32 v82, s0, v95, s6
	s_delay_alu instid0(VALU_DEP_1) | instskip(SKIP_1) | instid1(VALU_DEP_3)
	v_add_co_ci_u32_e64 v83, s0, s7, v96, s0
	v_fma_f64 v[46:47], v[117:118], v[46:47], -v[93:94]
	v_add_co_u32 v74, s0, v82, s4
	v_mul_f64 v[26:27], v[34:35], s[2:3]
	s_delay_alu instid0(VALU_DEP_4) | instskip(SKIP_3) | instid1(VALU_DEP_1)
	v_add_co_ci_u32_e64 v75, s0, s5, v83, s0
	v_mul_f64 v[24:25], v[32:33], s[2:3]
	v_fma_f64 v[44:45], v[117:118], v[44:45], v[78:79]
	v_add_co_u32 v78, s0, v74, s6
	v_add_co_ci_u32_e64 v79, s0, s7, v75, s0
	s_waitcnt vmcnt(4) lgkmcnt(4)
	v_mul_f64 v[32:33], v[131:132], v[62:63]
	v_mul_f64 v[34:35], v[131:132], v[60:61]
	scratch_load_b128 v[131:134], off, off offset:236 ; 16-byte Folded Reload
	s_waitcnt vmcnt(4)
	v_mul_f64 v[68:69], v[121:122], v[50:51]
	v_mul_f64 v[70:71], v[121:122], v[48:49]
	s_waitcnt vmcnt(2)
	v_mul_f64 v[72:73], v[115:116], v[58:59]
	v_mul_f64 v[76:77], v[115:116], v[56:57]
	;; [unrolled: 3-line block ×3, first 2 shown]
	s_waitcnt lgkmcnt(2)
	v_mul_f64 v[80:81], v[127:128], v[2:3]
	v_mul_f64 v[89:90], v[127:128], v[0:1]
	v_fma_f64 v[48:49], v[119:120], v[48:49], v[68:69]
	v_fma_f64 v[50:51], v[119:120], v[50:51], -v[70:71]
	v_fma_f64 v[56:57], v[113:114], v[56:57], v[72:73]
	v_fma_f64 v[58:59], v[113:114], v[58:59], -v[76:77]
	s_waitcnt vmcnt(0)
	v_mul_f64 v[91:92], v[133:134], v[66:67]
	v_mul_f64 v[97:98], v[133:134], v[64:65]
	scratch_load_b128 v[133:136], off, off offset:316 ; 16-byte Folded Reload
	s_waitcnt vmcnt(0) lgkmcnt(1)
	v_mul_f64 v[99:100], v[135:136], v[6:7]
	v_mul_f64 v[101:102], v[135:136], v[4:5]
	scratch_load_b128 v[135:138], off, off offset:332 ; 16-byte Folded Reload
	global_store_b128 v[95:96], v[20:23], off
	global_store_b128 v[82:83], v[8:11], off
	;; [unrolled: 1-line block ×4, first 2 shown]
	v_fma_f64 v[20:21], v[109:110], v[52:53], v[28:29]
	v_fma_f64 v[22:23], v[109:110], v[54:55], -v[30:31]
	v_fma_f64 v[24:25], v[129:130], v[60:61], v[32:33]
	v_fma_f64 v[26:27], v[129:130], v[62:63], -v[34:35]
	v_fma_f64 v[28:29], v[125:126], v[0:1], v[80:81]
	v_fma_f64 v[30:31], v[125:126], v[2:3], -v[89:90]
	v_fma_f64 v[32:33], v[131:132], v[64:65], v[91:92]
	v_fma_f64 v[34:35], v[131:132], v[66:67], -v[97:98]
	v_mul_f64 v[0:1], v[40:41], s[2:3]
	v_mul_f64 v[2:3], v[42:43], s[2:3]
	v_add_co_u32 v64, s0, v78, s4
	s_delay_alu instid0(VALU_DEP_1) | instskip(SKIP_1) | instid1(VALU_DEP_3)
	v_add_co_ci_u32_e64 v65, s0, s5, v79, s0
	v_mul_f64 v[8:9], v[44:45], s[2:3]
	v_add_co_u32 v66, s0, v64, s6
	s_delay_alu instid0(VALU_DEP_1) | instskip(SKIP_1) | instid1(VALU_DEP_3)
	v_add_co_ci_u32_e64 v67, s0, s7, v65, s0
	v_mul_f64 v[10:11], v[46:47], s[2:3]
	v_add_co_u32 v44, s0, v66, s4
	s_delay_alu instid0(VALU_DEP_1) | instskip(SKIP_2) | instid1(VALU_DEP_4)
	v_add_co_ci_u32_e64 v45, s0, s5, v67, s0
	v_mul_f64 v[16:17], v[56:57], s[2:3]
	v_mul_f64 v[18:19], v[58:59], s[2:3]
	v_add_co_u32 v46, s0, v44, s6
	s_delay_alu instid0(VALU_DEP_1)
	v_add_co_ci_u32_e64 v47, s0, s7, v45, s0
	v_fma_f64 v[52:53], v[133:134], v[4:5], v[99:100]
	v_fma_f64 v[54:55], v[133:134], v[6:7], -v[101:102]
	v_mul_f64 v[4:5], v[36:37], s[2:3]
	v_mul_f64 v[6:7], v[38:39], s[2:3]
	v_mul_f64 v[20:21], v[20:21], s[2:3]
	v_mul_f64 v[22:23], v[22:23], s[2:3]
	v_mul_f64 v[24:25], v[24:25], s[2:3]
	v_mul_f64 v[26:27], v[26:27], s[2:3]
	v_mul_f64 v[28:29], v[28:29], s[2:3]
	v_mul_f64 v[30:31], v[30:31], s[2:3]
	v_mul_f64 v[32:33], v[32:33], s[2:3]
	v_mul_f64 v[34:35], v[34:35], s[2:3]
	global_store_b128 v[64:65], v[0:3], off
	v_mul_f64 v[36:37], v[52:53], s[2:3]
	v_mul_f64 v[38:39], v[54:55], s[2:3]
	global_store_b128 v[66:67], v[4:7], off
	global_store_b128 v[44:45], v[8:11], off
	s_waitcnt vmcnt(0) lgkmcnt(0)
	v_mul_f64 v[103:104], v[137:138], v[14:15]
	v_mul_f64 v[105:106], v[137:138], v[12:13]
	s_delay_alu instid0(VALU_DEP_2) | instskip(NEXT) | instid1(VALU_DEP_2)
	v_fma_f64 v[60:61], v[135:136], v[12:13], v[103:104]
	v_fma_f64 v[62:63], v[135:136], v[14:15], -v[105:106]
	v_mul_f64 v[12:13], v[48:49], s[2:3]
	v_mul_f64 v[14:15], v[50:51], s[2:3]
	v_add_co_u32 v48, s0, v46, s4
	s_delay_alu instid0(VALU_DEP_1) | instskip(NEXT) | instid1(VALU_DEP_2)
	v_add_co_ci_u32_e64 v49, s0, s5, v47, s0
	v_add_co_u32 v0, s0, v48, s6
	s_delay_alu instid0(VALU_DEP_1) | instskip(NEXT) | instid1(VALU_DEP_2)
	v_add_co_ci_u32_e64 v1, s0, s7, v49, s0
	;; [unrolled: 3-line block ×5, first 2 shown]
	v_add_co_u32 v8, s0, v6, s6
	s_delay_alu instid0(VALU_DEP_1)
	v_add_co_ci_u32_e64 v9, s0, s7, v7, s0
	v_mul_f64 v[40:41], v[60:61], s[2:3]
	v_mul_f64 v[42:43], v[62:63], s[2:3]
	global_store_b128 v[46:47], v[12:15], off
	global_store_b128 v[48:49], v[16:19], off
	;; [unrolled: 1-line block ×3, first 2 shown]
	v_add_co_u32 v0, s0, v8, s4
	s_delay_alu instid0(VALU_DEP_1)
	v_add_co_ci_u32_e64 v1, s0, s5, v9, s0
	global_store_b128 v[2:3], v[24:27], off
	global_store_b128 v[4:5], v[28:31], off
	;; [unrolled: 1-line block ×5, first 2 shown]
	s_and_b32 exec_lo, exec_lo, vcc_lo
	s_cbranch_execz .LBB0_31
; %bb.30:
	scratch_load_b64 v[2:3], off, off offset:36 ; 8-byte Folded Reload
	s_waitcnt vmcnt(0)
	global_load_b128 v[2:5], v[2:3], off offset:2944
	ds_load_b128 v[6:9], v168 offset:7040
	ds_load_b128 v[10:13], v168 offset:14432
	s_waitcnt vmcnt(0) lgkmcnt(1)
	v_mul_f64 v[14:15], v[8:9], v[4:5]
	v_mul_f64 v[4:5], v[6:7], v[4:5]
	s_delay_alu instid0(VALU_DEP_2) | instskip(NEXT) | instid1(VALU_DEP_2)
	v_fma_f64 v[6:7], v[6:7], v[2:3], v[14:15]
	v_fma_f64 v[4:5], v[2:3], v[8:9], -v[4:5]
	s_delay_alu instid0(VALU_DEP_2)
	v_mul_f64 v[2:3], v[6:7], s[2:3]
	v_add_co_u32 v6, vcc_lo, v0, s6
	v_add_co_ci_u32_e32 v7, vcc_lo, s7, v1, vcc_lo
	scratch_load_b64 v[0:1], off, off offset:4 ; 8-byte Folded Reload
	v_mul_f64 v[4:5], v[4:5], s[2:3]
	global_store_b128 v[6:7], v[2:5], off
	s_waitcnt vmcnt(0)
	global_load_b128 v[0:3], v[0:1], off offset:2144
	s_waitcnt vmcnt(0) lgkmcnt(0)
	v_mul_f64 v[4:5], v[12:13], v[2:3]
	v_mul_f64 v[2:3], v[10:11], v[2:3]
	s_delay_alu instid0(VALU_DEP_2) | instskip(NEXT) | instid1(VALU_DEP_2)
	v_fma_f64 v[4:5], v[10:11], v[0:1], v[4:5]
	v_fma_f64 v[2:3], v[0:1], v[12:13], -v[2:3]
	s_delay_alu instid0(VALU_DEP_2) | instskip(NEXT) | instid1(VALU_DEP_2)
	v_mul_f64 v[0:1], v[4:5], s[2:3]
	v_mul_f64 v[2:3], v[2:3], s[2:3]
	v_add_co_u32 v4, vcc_lo, v6, s4
	v_add_co_ci_u32_e32 v5, vcc_lo, s5, v7, vcc_lo
	global_store_b128 v[4:5], v[0:3], off
.LBB0_31:
	s_nop 0
	s_sendmsg sendmsg(MSG_DEALLOC_VGPRS)
	s_endpgm
	.section	.rodata,"a",@progbits
	.p2align	6, 0x0
	.amdhsa_kernel bluestein_single_back_len924_dim1_dp_op_CI_CI
		.amdhsa_group_segment_fixed_size 14784
		.amdhsa_private_segment_fixed_size 920
		.amdhsa_kernarg_size 104
		.amdhsa_user_sgpr_count 15
		.amdhsa_user_sgpr_dispatch_ptr 0
		.amdhsa_user_sgpr_queue_ptr 0
		.amdhsa_user_sgpr_kernarg_segment_ptr 1
		.amdhsa_user_sgpr_dispatch_id 0
		.amdhsa_user_sgpr_private_segment_size 0
		.amdhsa_wavefront_size32 1
		.amdhsa_uses_dynamic_stack 0
		.amdhsa_enable_private_segment 1
		.amdhsa_system_sgpr_workgroup_id_x 1
		.amdhsa_system_sgpr_workgroup_id_y 0
		.amdhsa_system_sgpr_workgroup_id_z 0
		.amdhsa_system_sgpr_workgroup_info 0
		.amdhsa_system_vgpr_workitem_id 0
		.amdhsa_next_free_vgpr 256
		.amdhsa_next_free_sgpr 40
		.amdhsa_reserve_vcc 1
		.amdhsa_float_round_mode_32 0
		.amdhsa_float_round_mode_16_64 0
		.amdhsa_float_denorm_mode_32 3
		.amdhsa_float_denorm_mode_16_64 3
		.amdhsa_dx10_clamp 1
		.amdhsa_ieee_mode 1
		.amdhsa_fp16_overflow 0
		.amdhsa_workgroup_processor_mode 1
		.amdhsa_memory_ordered 1
		.amdhsa_forward_progress 0
		.amdhsa_shared_vgpr_count 0
		.amdhsa_exception_fp_ieee_invalid_op 0
		.amdhsa_exception_fp_denorm_src 0
		.amdhsa_exception_fp_ieee_div_zero 0
		.amdhsa_exception_fp_ieee_overflow 0
		.amdhsa_exception_fp_ieee_underflow 0
		.amdhsa_exception_fp_ieee_inexact 0
		.amdhsa_exception_int_div_zero 0
	.end_amdhsa_kernel
	.text
.Lfunc_end0:
	.size	bluestein_single_back_len924_dim1_dp_op_CI_CI, .Lfunc_end0-bluestein_single_back_len924_dim1_dp_op_CI_CI
                                        ; -- End function
	.section	.AMDGPU.csdata,"",@progbits
; Kernel info:
; codeLenInByte = 35764
; NumSgprs: 42
; NumVgprs: 256
; ScratchSize: 920
; MemoryBound: 0
; FloatMode: 240
; IeeeMode: 1
; LDSByteSize: 14784 bytes/workgroup (compile time only)
; SGPRBlocks: 5
; VGPRBlocks: 31
; NumSGPRsForWavesPerEU: 42
; NumVGPRsForWavesPerEU: 256
; Occupancy: 4
; WaveLimiterHint : 1
; COMPUTE_PGM_RSRC2:SCRATCH_EN: 1
; COMPUTE_PGM_RSRC2:USER_SGPR: 15
; COMPUTE_PGM_RSRC2:TRAP_HANDLER: 0
; COMPUTE_PGM_RSRC2:TGID_X_EN: 1
; COMPUTE_PGM_RSRC2:TGID_Y_EN: 0
; COMPUTE_PGM_RSRC2:TGID_Z_EN: 0
; COMPUTE_PGM_RSRC2:TIDIG_COMP_CNT: 0
	.text
	.p2alignl 7, 3214868480
	.fill 96, 4, 3214868480
	.type	__hip_cuid_87bb9e4b4de5ac5f,@object ; @__hip_cuid_87bb9e4b4de5ac5f
	.section	.bss,"aw",@nobits
	.globl	__hip_cuid_87bb9e4b4de5ac5f
__hip_cuid_87bb9e4b4de5ac5f:
	.byte	0                               ; 0x0
	.size	__hip_cuid_87bb9e4b4de5ac5f, 1

	.ident	"AMD clang version 19.0.0git (https://github.com/RadeonOpenCompute/llvm-project roc-6.4.0 25133 c7fe45cf4b819c5991fe208aaa96edf142730f1d)"
	.section	".note.GNU-stack","",@progbits
	.addrsig
	.addrsig_sym __hip_cuid_87bb9e4b4de5ac5f
	.amdgpu_metadata
---
amdhsa.kernels:
  - .args:
      - .actual_access:  read_only
        .address_space:  global
        .offset:         0
        .size:           8
        .value_kind:     global_buffer
      - .actual_access:  read_only
        .address_space:  global
        .offset:         8
        .size:           8
        .value_kind:     global_buffer
      - .actual_access:  read_only
        .address_space:  global
        .offset:         16
        .size:           8
        .value_kind:     global_buffer
      - .actual_access:  read_only
        .address_space:  global
        .offset:         24
        .size:           8
        .value_kind:     global_buffer
      - .actual_access:  read_only
        .address_space:  global
        .offset:         32
        .size:           8
        .value_kind:     global_buffer
      - .offset:         40
        .size:           8
        .value_kind:     by_value
      - .address_space:  global
        .offset:         48
        .size:           8
        .value_kind:     global_buffer
      - .address_space:  global
        .offset:         56
        .size:           8
        .value_kind:     global_buffer
      - .address_space:  global
        .offset:         64
        .size:           8
        .value_kind:     global_buffer
      - .address_space:  global
        .offset:         72
        .size:           8
        .value_kind:     global_buffer
      - .offset:         80
        .size:           4
        .value_kind:     by_value
      - .address_space:  global
        .offset:         88
        .size:           8
        .value_kind:     global_buffer
      - .address_space:  global
        .offset:         96
        .size:           8
        .value_kind:     global_buffer
    .group_segment_fixed_size: 14784
    .kernarg_segment_align: 8
    .kernarg_segment_size: 104
    .language:       OpenCL C
    .language_version:
      - 2
      - 0
    .max_flat_workgroup_size: 44
    .name:           bluestein_single_back_len924_dim1_dp_op_CI_CI
    .private_segment_fixed_size: 920
    .sgpr_count:     42
    .sgpr_spill_count: 0
    .symbol:         bluestein_single_back_len924_dim1_dp_op_CI_CI.kd
    .uniform_work_group_size: 1
    .uses_dynamic_stack: false
    .vgpr_count:     256
    .vgpr_spill_count: 229
    .wavefront_size: 32
    .workgroup_processor_mode: 1
amdhsa.target:   amdgcn-amd-amdhsa--gfx1100
amdhsa.version:
  - 1
  - 2
...

	.end_amdgpu_metadata
